;; amdgpu-corpus repo=ROCm/rocFFT kind=compiled arch=gfx1030 opt=O3
	.text
	.amdgcn_target "amdgcn-amd-amdhsa--gfx1030"
	.amdhsa_code_object_version 6
	.protected	bluestein_single_back_len238_dim1_dp_op_CI_CI ; -- Begin function bluestein_single_back_len238_dim1_dp_op_CI_CI
	.globl	bluestein_single_back_len238_dim1_dp_op_CI_CI
	.p2align	8
	.type	bluestein_single_back_len238_dim1_dp_op_CI_CI,@function
bluestein_single_back_len238_dim1_dp_op_CI_CI: ; @bluestein_single_back_len238_dim1_dp_op_CI_CI
; %bb.0:
	s_mov_b64 s[62:63], s[2:3]
	s_mov_b64 s[60:61], s[0:1]
	s_load_dwordx4 s[0:3], s[4:5], 0x28
	v_mul_u32_u24_e32 v1, 0xf10, v0
	s_add_u32 s60, s60, s7
	s_addc_u32 s61, s61, 0
	v_lshrrev_b32_e32 v1, 16, v1
	v_mad_u64_u32 v[3:4], null, s6, 3, v[1:2]
	v_mov_b32_e32 v4, 0
	s_waitcnt lgkmcnt(0)
	v_cmp_gt_u64_e32 vcc_lo, s[0:1], v[3:4]
	s_and_saveexec_b32 s0, vcc_lo
	s_cbranch_execz .LBB0_15
; %bb.1:
	v_mul_hi_u32 v2, 0xaaaaaaab, v3
	v_mul_lo_u16 v1, v1, 17
	s_clause 0x1
	s_load_dwordx2 s[12:13], s[4:5], 0x0
	s_load_dwordx2 s[14:15], s[4:5], 0x38
	v_sub_nc_u16 v0, v0, v1
	v_mov_b32_e32 v1, v3
	v_lshrrev_b32_e32 v2, 1, v2
	v_and_b32_e32 v255, 0xffff, v0
	v_cmp_gt_u16_e32 vcc_lo, 14, v0
	v_lshl_add_u32 v2, v2, 1, v2
	buffer_store_dword v1, off, s[60:63], 0 offset:8 ; 4-byte Folded Spill
	buffer_store_dword v2, off, s[60:63], 0 offset:12 ; 4-byte Folded Spill
	v_or_b32_e32 v0, 0x70, v255
	v_lshlrev_b32_e32 v242, 4, v255
	v_or_b32_e32 v241, 0xe0, v255
	v_sub_nc_u32_e32 v1, v3, v2
	v_mul_u32_u24_e32 v1, 0xee, v1
	buffer_store_dword v0, off, s[60:63], 0 offset:16 ; 4-byte Folded Spill
	buffer_store_dword v1, off, s[60:63], 0 ; 4-byte Folded Spill
	v_lshlrev_b32_e32 v0, 4, v1
	buffer_store_dword v0, off, s[60:63], 0 offset:4 ; 4-byte Folded Spill
	s_and_saveexec_b32 s1, vcc_lo
	s_cbranch_execz .LBB0_3
; %bb.2:
	s_load_dwordx2 s[6:7], s[4:5], 0x18
	s_waitcnt lgkmcnt(0)
	v_add_co_u32 v28, s0, s12, v242
	v_add_co_ci_u32_e64 v29, null, s13, 0, s0
	v_lshlrev_b32_e32 v52, 4, v241
	s_load_dwordx4 s[8:11], s[6:7], 0x0
	s_clause 0x1
	buffer_load_dword v0, off, s[60:63], 0 offset:8
	buffer_load_dword v1, off, s[60:63], 0 offset:12
	s_waitcnt lgkmcnt(0)
	v_mad_u64_u32 v[26:27], null, s8, v255, 0
	s_mul_i32 s6, s9, 0xe0
	s_mul_hi_u32 s7, s8, 0xe0
	v_mad_u64_u32 v[50:51], null, s8, v241, 0
	s_add_i32 s7, s7, s6
	s_waitcnt vmcnt(1)
	v_mov_b32_e32 v30, v0
	s_clause 0x5
	global_load_dwordx4 v[0:3], v242, s[12:13]
	global_load_dwordx4 v[4:7], v242, s[12:13] offset:224
	global_load_dwordx4 v[8:11], v242, s[12:13] offset:448
	global_load_dwordx4 v[12:15], v242, s[12:13] offset:672
	global_load_dwordx4 v[16:19], v242, s[12:13] offset:896
	global_load_dwordx4 v[20:23], v242, s[12:13] offset:1120
	v_mad_u64_u32 v[24:25], null, s10, v30, 0
	s_mul_i32 s10, s8, 0xe0
	v_mad_u64_u32 v[46:47], null, s11, v30, v[25:26]
	v_mad_u64_u32 v[47:48], null, s9, v255, v[27:28]
	s_clause 0x3
	global_load_dwordx4 v[30:33], v242, s[12:13] offset:1344
	global_load_dwordx4 v[34:37], v242, s[12:13] offset:1568
	;; [unrolled: 1-line block ×4, first 2 shown]
	v_mov_b32_e32 v25, v46
	v_or_b32_e32 v46, 0x70, v255
	v_mov_b32_e32 v27, v47
	v_lshlrev_b64 v[24:25], 4, v[24:25]
	v_mad_u64_u32 v[48:49], null, s8, v46, 0
	v_lshlrev_b64 v[26:27], 4, v[26:27]
	v_add_co_u32 v53, s0, s2, v24
	v_add_co_ci_u32_e64 v55, s0, s3, v25, s0
	v_add_co_u32 v24, s0, v53, v26
	v_add_co_ci_u32_e64 v25, s0, v55, v27, s0
	v_mov_b32_e32 v26, v49
	v_add_co_u32 v58, s0, v24, s10
	v_add_co_ci_u32_e64 v59, s0, s7, v25, s0
	v_mov_b32_e32 v27, v51
	v_add_co_u32 v70, s0, v58, s10
	v_add_co_ci_u32_e64 v71, s0, s7, v59, s0
	v_mad_u64_u32 v[46:47], null, s9, v46, v[26:27]
	v_add_co_u32 v82, s0, v70, s10
	v_add_co_ci_u32_e64 v83, s0, s7, v71, s0
	v_mad_u64_u32 v[26:27], null, s9, v241, v[27:28]
	v_add_co_u32 v86, s0, v82, s10
	v_add_co_ci_u32_e64 v87, s0, s7, v83, s0
	v_mov_b32_e32 v49, v46
	v_add_co_u32 v90, s0, v86, s10
	v_add_co_ci_u32_e64 v91, s0, s7, v87, s0
	v_mov_b32_e32 v51, v26
	v_add_co_u32 v94, s0, v90, s10
	v_add_co_ci_u32_e64 v95, s0, s7, v91, s0
	v_lshlrev_b64 v[26:27], 4, v[48:49]
	v_add_co_u32 v98, s0, v94, s10
	v_add_co_ci_u32_e64 v99, s0, s7, v95, s0
	v_add_co_u32 v28, s0, 0x800, v28
	v_lshlrev_b64 v[46:47], 4, v[50:51]
	v_add_co_ci_u32_e64 v29, s0, 0, v29, s0
	v_add_co_u32 v48, s0, v53, v26
	v_add_co_ci_u32_e64 v49, s0, v55, v27, s0
	v_add_co_u32 v54, s0, v53, v46
	v_add_co_ci_u32_e64 v55, s0, v55, v47, s0
	s_clause 0x1
	global_load_dwordx4 v[24:27], v[24:25], off
	global_load_dwordx4 v[46:49], v[48:49], off
	global_load_dwordx4 v[50:53], v52, s[12:13]
	s_clause 0x1
	global_load_dwordx4 v[54:57], v[54:55], off
	global_load_dwordx4 v[58:61], v[58:59], off
	v_mad_u64_u32 v[102:103], null, 0x1c0, s8, v[98:99]
	v_mov_b32_e32 v62, v103
	v_add_co_u32 v106, s0, v102, s10
	v_mad_u64_u32 v[96:97], null, 0x1c0, s9, v[62:63]
	s_clause 0x1
	global_load_dwordx4 v[62:65], v[28:29], off offset:192
	global_load_dwordx4 v[66:69], v[28:29], off offset:416
	global_load_dwordx4 v[70:73], v[70:71], off
	s_clause 0x1
	global_load_dwordx4 v[74:77], v[28:29], off offset:640
	global_load_dwordx4 v[78:81], v[28:29], off offset:864
	s_clause 0x1
	global_load_dwordx4 v[82:85], v[82:83], off
	global_load_dwordx4 v[86:89], v[86:87], off
	;; [unrolled: 1-line block ×4, first 2 shown]
	v_mov_b32_e32 v103, v96
	global_load_dwordx4 v[94:97], v[94:95], off
	v_add_co_ci_u32_e64 v107, s0, s7, v103, s0
	v_add_co_u32 v110, s0, v106, s10
	global_load_dwordx4 v[102:105], v[102:103], off
	v_add_co_ci_u32_e64 v111, s0, s7, v107, s0
	v_add_co_u32 v114, s0, v110, s10
	;; [unrolled: 3-line block ×5, first 2 shown]
	v_add_co_ci_u32_e64 v138, s0, s7, v123, s0
	global_load_dwordx4 v[118:121], v[118:119], off
	global_load_dwordx4 v[125:128], v[122:123], off
	s_clause 0x1
	global_load_dwordx4 v[129:132], v[28:29], off offset:1088
	global_load_dwordx4 v[133:136], v[28:29], off offset:1312
	global_load_dwordx4 v[137:140], v[137:138], off
	s_waitcnt vmcnt(23)
	v_mul_f64 v[28:29], v[26:27], v[2:3]
	v_mul_f64 v[2:3], v[24:25], v[2:3]
	s_waitcnt vmcnt(22)
	v_mul_f64 v[122:123], v[48:49], v[40:41]
	v_mul_f64 v[40:41], v[46:47], v[40:41]
	;; [unrolled: 3-line block ×3, first 2 shown]
	v_mul_f64 v[141:142], v[56:57], v[52:53]
	v_mul_f64 v[151:152], v[54:55], v[52:53]
	s_waitcnt vmcnt(16)
	v_mul_f64 v[147:148], v[72:73], v[10:11]
	v_mul_f64 v[10:11], v[70:71], v[10:11]
	s_waitcnt vmcnt(13)
	;; [unrolled: 3-line block ×3, first 2 shown]
	v_mul_f64 v[52:53], v[88:89], v[18:19]
	v_mul_f64 v[18:19], v[86:87], v[18:19]
	v_fma_f64 v[24:25], v[24:25], v[0:1], v[28:29]
	v_fma_f64 v[26:27], v[26:27], v[0:1], -v[2:3]
	v_fma_f64 v[0:1], v[46:47], v[38:39], v[122:123]
	v_fma_f64 v[2:3], v[48:49], v[38:39], -v[40:41]
	s_waitcnt vmcnt(11)
	v_mul_f64 v[28:29], v[92:93], v[22:23]
	v_fma_f64 v[38:39], v[58:59], v[4:5], v[143:144]
	v_fma_f64 v[40:41], v[60:61], v[4:5], -v[145:146]
	s_waitcnt vmcnt(9)
	v_mul_f64 v[4:5], v[96:97], v[32:33]
	v_mul_f64 v[22:23], v[90:91], v[22:23]
	;; [unrolled: 1-line block ×3, first 2 shown]
	v_fma_f64 v[6:7], v[54:55], v[50:51], v[141:142]
	s_waitcnt vmcnt(8)
	v_mul_f64 v[54:55], v[104:105], v[44:45]
	v_mul_f64 v[44:45], v[102:103], v[44:45]
	v_fma_f64 v[46:47], v[70:71], v[8:9], v[147:148]
	v_fma_f64 v[48:49], v[72:73], v[8:9], -v[10:11]
	v_mul_f64 v[8:9], v[100:101], v[36:37]
	v_fma_f64 v[10:11], v[82:83], v[12:13], v[149:150]
	v_fma_f64 v[12:13], v[84:85], v[12:13], -v[14:15]
	v_fma_f64 v[14:15], v[86:87], v[16:17], v[52:53]
	v_fma_f64 v[16:17], v[88:89], v[16:17], -v[18:19]
	v_mul_f64 v[36:37], v[98:99], v[36:37]
	s_waitcnt vmcnt(7)
	v_mul_f64 v[58:59], v[108:109], v[64:65]
	v_mul_f64 v[60:61], v[106:107], v[64:65]
	s_waitcnt vmcnt(6)
	v_mul_f64 v[64:65], v[112:113], v[68:69]
	v_mul_f64 v[68:69], v[110:111], v[68:69]
	v_fma_f64 v[18:19], v[90:91], v[20:21], v[28:29]
	s_waitcnt vmcnt(5)
	v_mul_f64 v[70:71], v[116:117], v[76:77]
	v_mul_f64 v[72:73], v[114:115], v[76:77]
	v_fma_f64 v[28:29], v[94:95], v[30:31], v[4:5]
	buffer_load_dword v5, off, s[60:63], 0 offset:4 ; 4-byte Folded Reload
	s_waitcnt vmcnt(5)
	v_mul_f64 v[76:77], v[120:121], v[80:81]
	v_mul_f64 v[80:81], v[118:119], v[80:81]
	s_waitcnt vmcnt(3)
	v_mul_f64 v[82:83], v[127:128], v[131:132]
	v_mul_f64 v[84:85], v[125:126], v[131:132]
	s_waitcnt vmcnt(1)
	v_mul_f64 v[122:123], v[139:140], v[135:136]
	v_mul_f64 v[131:132], v[137:138], v[135:136]
	v_fma_f64 v[20:21], v[92:93], v[20:21], -v[22:23]
	v_fma_f64 v[30:31], v[96:97], v[30:31], -v[32:33]
	v_fma_f64 v[32:33], v[98:99], v[34:35], v[8:9]
	v_fma_f64 v[52:53], v[102:103], v[42:43], v[54:55]
	v_fma_f64 v[54:55], v[104:105], v[42:43], -v[44:45]
	v_fma_f64 v[8:9], v[56:57], v[50:51], -v[151:152]
	;; [unrolled: 1-line block ×3, first 2 shown]
	v_fma_f64 v[42:43], v[106:107], v[62:63], v[58:59]
	v_fma_f64 v[44:45], v[108:109], v[62:63], -v[60:61]
	v_fma_f64 v[58:59], v[110:111], v[66:67], v[64:65]
	v_fma_f64 v[60:61], v[112:113], v[66:67], -v[68:69]
	;; [unrolled: 2-line block ×6, first 2 shown]
	s_waitcnt vmcnt(0)
	v_lshl_add_u32 v4, v255, 4, v5
	v_add_nc_u32_e32 v5, v5, v242
	ds_write_b128 v4, v[24:27]
	ds_write_b128 v5, v[0:3] offset:1792
	ds_write_b128 v5, v[38:41] offset:224
	;; [unrolled: 1-line block ×16, first 2 shown]
.LBB0_3:
	s_or_b32 exec_lo, exec_lo, s1
	s_clause 0x1
	s_load_dwordx2 s[2:3], s[4:5], 0x20
	s_load_dwordx2 s[0:1], s[4:5], 0x8
	s_waitcnt lgkmcnt(0)
	s_waitcnt_vscnt null, 0x0
	s_barrier
	buffer_gl0_inv
                                        ; implicit-def: $vgpr12_vgpr13
                                        ; implicit-def: $vgpr64_vgpr65
                                        ; implicit-def: $vgpr68_vgpr69
                                        ; implicit-def: $vgpr72_vgpr73
                                        ; implicit-def: $vgpr76_vgpr77
                                        ; implicit-def: $vgpr60_vgpr61
                                        ; implicit-def: $vgpr56_vgpr57
                                        ; implicit-def: $vgpr44_vgpr45
                                        ; implicit-def: $vgpr52_vgpr53
                                        ; implicit-def: $vgpr48_vgpr49
                                        ; implicit-def: $vgpr40_vgpr41
                                        ; implicit-def: $vgpr36_vgpr37
                                        ; implicit-def: $vgpr32_vgpr33
                                        ; implicit-def: $vgpr28_vgpr29
                                        ; implicit-def: $vgpr24_vgpr25
                                        ; implicit-def: $vgpr20_vgpr21
                                        ; implicit-def: $vgpr16_vgpr17
	s_and_saveexec_b32 s4, vcc_lo
	s_cbranch_execz .LBB0_5
; %bb.4:
	buffer_load_dword v0, off, s[60:63], 0  ; 4-byte Folded Reload
	s_waitcnt vmcnt(0)
	v_lshl_add_u32 v0, v0, 4, v242
	ds_read_b128 v[12:15], v0
	ds_read_b128 v[64:67], v0 offset:224
	ds_read_b128 v[68:71], v0 offset:448
	;; [unrolled: 1-line block ×16, first 2 shown]
.LBB0_5:
	s_or_b32 exec_lo, exec_lo, s4
	s_waitcnt lgkmcnt(0)
	v_add_f64 v[118:119], v[66:67], -v[18:19]
	v_add_f64 v[125:126], v[64:65], -v[16:17]
	s_mov_b32 s4, 0x5d8e7cdc
	s_mov_b32 s6, 0x2a9d6da3
	;; [unrolled: 1-line block ×6, first 2 shown]
	v_add_f64 v[114:115], v[64:65], v[16:17]
	v_add_f64 v[88:89], v[70:71], -v[22:23]
	v_add_f64 v[135:136], v[66:67], v[18:19]
	v_add_f64 v[82:83], v[68:69], -v[20:21]
	s_mov_b32 s8, 0x370991
	s_mov_b32 s10, 0x75d4884
	;; [unrolled: 1-line block ×10, first 2 shown]
	v_mul_f64 v[141:142], v[118:119], s[4:5]
	v_mul_f64 v[149:150], v[125:126], s[4:5]
	;; [unrolled: 1-line block ×6, first 2 shown]
	v_add_f64 v[80:81], v[68:69], v[20:21]
	v_add_f64 v[90:91], v[74:75], -v[26:27]
	v_add_f64 v[92:93], v[70:71], v[22:23]
	v_add_f64 v[86:87], v[72:73], -v[24:25]
	v_mul_f64 v[171:172], v[88:89], s[6:7]
	v_mul_f64 v[175:176], v[82:83], s[6:7]
	;; [unrolled: 1-line block ×6, first 2 shown]
	s_mov_b32 s22, 0x3259b75e
	s_mov_b32 s34, 0xacd6c6b4
	;; [unrolled: 1-line block ×6, first 2 shown]
	v_fma_f64 v[0:1], v[114:115], s[8:9], v[141:142]
	v_fma_f64 v[2:3], v[135:136], s[8:9], -v[149:150]
	v_fma_f64 v[4:5], v[114:115], s[10:11], v[229:230]
	v_fma_f64 v[6:7], v[135:136], s[10:11], -v[235:236]
	v_fma_f64 v[8:9], v[114:115], s[16:17], v[237:238]
	v_fma_f64 v[10:11], v[135:136], s[16:17], -v[239:240]
	v_add_f64 v[84:85], v[72:73], v[24:25]
	v_add_f64 v[94:95], v[78:79], -v[30:31]
	v_add_f64 v[96:97], v[74:75], v[26:27]
	v_add_f64 v[100:101], v[76:77], -v[28:29]
	v_mul_f64 v[183:184], v[90:91], s[18:19]
	v_fma_f64 v[110:111], v[80:81], s[10:11], v[171:172]
	v_mul_f64 v[187:188], v[86:87], s[18:19]
	v_mul_f64 v[163:164], v[90:91], s[24:25]
	;; [unrolled: 1-line block ×3, first 2 shown]
	v_fma_f64 v[112:113], v[92:93], s[10:11], -v[175:176]
	v_fma_f64 v[120:121], v[80:81], s[22:23], v[157:158]
	v_fma_f64 v[122:123], v[92:93], s[22:23], -v[159:160]
	v_mul_f64 v[153:154], v[90:91], s[34:35]
	v_mul_f64 v[155:156], v[86:87], s[34:35]
	v_fma_f64 v[129:130], v[80:81], s[30:31], v[147:148]
	v_fma_f64 v[131:132], v[92:93], s[30:31], -v[151:152]
	v_add_f64 v[0:1], v[12:13], v[0:1]
	v_add_f64 v[2:3], v[14:15], v[2:3]
	;; [unrolled: 1-line block ×6, first 2 shown]
	s_mov_b32 s40, 0x923c349f
	s_mov_b32 s36, 0x7faef3
	;; [unrolled: 1-line block ×6, first 2 shown]
	v_add_f64 v[98:99], v[76:77], v[28:29]
	v_add_f64 v[106:107], v[62:63], -v[34:35]
	v_add_f64 v[108:109], v[78:79], v[30:31]
	v_add_f64 v[104:105], v[60:61], -v[32:33]
	v_mul_f64 v[195:196], v[94:95], s[20:21]
	v_fma_f64 v[133:134], v[84:85], s[16:17], v[183:184]
	v_mul_f64 v[199:200], v[100:101], s[20:21]
	v_mul_f64 v[173:174], v[94:95], s[44:45]
	v_fma_f64 v[137:138], v[96:97], s[16:17], -v[187:188]
	v_fma_f64 v[139:140], v[84:85], s[30:31], v[163:164]
	v_add_f64 v[0:1], v[110:111], v[0:1]
	v_add_f64 v[2:3], v[112:113], v[2:3]
	v_fma_f64 v[143:144], v[96:97], s[30:31], -v[167:168]
	v_add_f64 v[4:5], v[120:121], v[4:5]
	v_add_f64 v[6:7], v[122:123], v[6:7]
	v_mul_f64 v[177:178], v[100:101], s[44:45]
	v_fma_f64 v[120:121], v[84:85], s[36:37], v[153:154]
	v_fma_f64 v[122:123], v[96:97], s[36:37], -v[155:156]
	v_add_f64 v[8:9], v[129:130], v[8:9]
	v_add_f64 v[10:11], v[131:132], v[10:11]
	v_mul_f64 v[161:162], v[94:95], s[40:41]
	v_mul_f64 v[165:166], v[100:101], s[40:41]
	s_mov_b32 s28, 0xc61f0d01
	s_mov_b32 s38, 0x4363dd80
	;; [unrolled: 1-line block ×8, first 2 shown]
	v_add_f64 v[102:103], v[60:61], v[32:33]
	v_add_f64 v[116:117], v[58:59], -v[38:39]
	v_add_f64 v[127:128], v[62:63], v[34:35]
	v_mul_f64 v[201:202], v[106:107], s[26:27]
	v_fma_f64 v[129:130], v[98:99], s[22:23], v[195:196]
	v_add_f64 v[0:1], v[133:134], v[0:1]
	v_add_f64 v[112:113], v[56:57], -v[36:37]
	v_mul_f64 v[211:212], v[104:105], s[26:27]
	v_fma_f64 v[131:132], v[108:109], s[22:23], -v[199:200]
	v_add_f64 v[2:3], v[137:138], v[2:3]
	v_add_f64 v[4:5], v[139:140], v[4:5]
	;; [unrolled: 1-line block ×3, first 2 shown]
	v_fma_f64 v[139:140], v[98:99], s[36:37], v[173:174]
	v_fma_f64 v[143:144], v[108:109], s[36:37], -v[177:178]
	v_mul_f64 v[189:190], v[106:107], s[38:39]
	v_mul_f64 v[191:192], v[104:105], s[38:39]
	v_add_f64 v[8:9], v[120:121], v[8:9]
	v_add_f64 v[10:11], v[122:123], v[10:11]
	v_fma_f64 v[181:182], v[98:99], s[28:29], v[161:162]
	v_fma_f64 v[185:186], v[108:109], s[28:29], -v[165:166]
	v_mul_f64 v[169:170], v[106:107], s[50:51]
	v_mul_f64 v[179:180], v[104:105], s[50:51]
	s_mov_b32 s42, 0x910ea3b9
	s_mov_b32 s43, 0xbfeb34fa
	v_add_f64 v[110:111], v[56:57], v[36:37]
	v_add_f64 v[133:134], v[46:47], -v[42:43]
	v_mul_f64 v[213:214], v[116:117], s[24:25]
	v_fma_f64 v[145:146], v[102:103], s[28:29], v[201:202]
	v_add_f64 v[0:1], v[129:130], v[0:1]
	v_add_f64 v[137:138], v[58:59], v[38:39]
	v_mul_f64 v[219:220], v[112:113], s[24:25]
	v_fma_f64 v[129:130], v[127:128], s[28:29], -v[211:212]
	v_add_f64 v[2:3], v[131:132], v[2:3]
	v_add_f64 v[120:121], v[44:45], -v[40:41]
	v_add_f64 v[4:5], v[139:140], v[4:5]
	v_add_f64 v[6:7], v[143:144], v[6:7]
	v_fma_f64 v[131:132], v[102:103], s[42:43], v[189:190]
	v_fma_f64 v[193:194], v[127:128], s[42:43], -v[191:192]
	v_mul_f64 v[203:204], v[116:117], s[40:41]
	v_mul_f64 v[207:208], v[112:113], s[40:41]
	v_add_f64 v[8:9], v[181:182], v[8:9]
	v_add_f64 v[10:11], v[185:186], v[10:11]
	v_fma_f64 v[197:198], v[102:103], s[10:11], v[169:170]
	v_fma_f64 v[205:206], v[127:128], s[10:11], -v[179:180]
	v_mul_f64 v[181:182], v[116:117], s[4:5]
	v_mul_f64 v[185:186], v[112:113], s[4:5]
	s_mov_b32 s49, 0xbfe0d888
	s_mov_b32 s48, s38
	;; [unrolled: 1-line block ×4, first 2 shown]
	v_add_f64 v[122:123], v[44:45], v[40:41]
	v_mul_f64 v[223:224], v[133:134], s[48:49]
	v_fma_f64 v[209:210], v[110:111], s[30:31], v[213:214]
	v_add_f64 v[0:1], v[145:146], v[0:1]
	v_fma_f64 v[145:146], v[137:138], s[30:31], -v[219:220]
	v_add_f64 v[2:3], v[129:130], v[2:3]
	v_add_f64 v[143:144], v[46:47], v[42:43]
	v_mul_f64 v[227:228], v[120:121], s[48:49]
	v_add_f64 v[139:140], v[54:55], -v[50:51]
	v_add_f64 v[129:130], v[52:53], -v[48:49]
	v_add_f64 v[4:5], v[131:132], v[4:5]
	v_add_f64 v[6:7], v[193:194], v[6:7]
	v_fma_f64 v[221:222], v[110:111], s[28:29], v[203:204]
	v_fma_f64 v[225:226], v[137:138], s[28:29], -v[207:208]
	v_mul_f64 v[215:216], v[133:134], s[46:47]
	v_mul_f64 v[217:218], v[120:121], s[46:47]
	v_add_f64 v[8:9], v[197:198], v[8:9]
	v_add_f64 v[10:11], v[205:206], v[10:11]
	v_fma_f64 v[205:206], v[110:111], s[8:9], v[181:182]
	v_fma_f64 v[247:248], v[137:138], s[8:9], -v[185:186]
	v_mul_f64 v[193:194], v[133:134], s[20:21]
	v_mul_f64 v[197:198], v[120:121], s[20:21]
	s_mov_b32 s53, 0x3fd71e95
	s_mov_b32 s52, s4
	v_fma_f64 v[249:250], v[122:123], s[42:43], v[223:224]
	v_add_f64 v[0:1], v[209:210], v[0:1]
	v_add_f64 v[131:132], v[52:53], v[48:49]
	;; [unrolled: 1-line block ×4, first 2 shown]
	v_fma_f64 v[251:252], v[143:144], s[42:43], -v[227:228]
	v_mul_f64 v[231:232], v[139:140], s[44:45]
	v_mul_f64 v[233:234], v[129:130], s[44:45]
	;; [unrolled: 1-line block ×3, first 2 shown]
	v_add_f64 v[4:5], v[221:222], v[4:5]
	v_add_f64 v[6:7], v[225:226], v[6:7]
	v_fma_f64 v[253:254], v[122:123], s[16:17], v[215:216]
	v_fma_f64 v[245:246], v[143:144], s[16:17], -v[217:218]
	v_mul_f64 v[221:222], v[139:140], s[52:53]
	v_mul_f64 v[225:226], v[129:130], s[52:53]
	v_add_f64 v[8:9], v[205:206], v[8:9]
	v_add_f64 v[10:11], v[247:248], v[10:11]
	v_fma_f64 v[247:248], v[122:123], s[22:23], v[193:194]
	v_fma_f64 v[243:244], v[143:144], s[22:23], -v[197:198]
	v_mul_f64 v[205:206], v[139:140], s[48:49]
	s_barrier
	buffer_gl0_inv
	v_add_f64 v[0:1], v[249:250], v[0:1]
	v_add_f64 v[2:3], v[251:252], v[2:3]
	v_fma_f64 v[249:250], v[131:132], s[36:37], v[231:232]
	v_fma_f64 v[251:252], v[145:146], s[36:37], -v[233:234]
	v_add_f64 v[4:5], v[253:254], v[4:5]
	v_add_f64 v[6:7], v[245:246], v[6:7]
	v_fma_f64 v[245:246], v[131:132], s[8:9], v[221:222]
	v_fma_f64 v[253:254], v[145:146], s[8:9], -v[225:226]
	;; [unrolled: 4-line block ×3, first 2 shown]
	v_add_f64 v[0:1], v[249:250], v[0:1]
	v_add_f64 v[2:3], v[251:252], v[2:3]
	;; [unrolled: 1-line block ×6, first 2 shown]
	s_and_saveexec_b32 s33, vcc_lo
	s_cbranch_execz .LBB0_7
; %bb.6:
	v_add_f64 v[64:65], v[12:13], v[64:65]
	v_add_f64 v[66:67], v[14:15], v[66:67]
	s_mov_b32 s55, 0x3fe9895b
	s_mov_b32 s54, s24
	;; [unrolled: 1-line block ×4, first 2 shown]
	v_add_f64 v[64:65], v[64:65], v[68:69]
	v_add_f64 v[66:67], v[66:67], v[70:71]
	v_mul_f64 v[70:71], v[114:115], s[8:9]
	v_add_f64 v[64:65], v[64:65], v[72:73]
	v_add_f64 v[66:67], v[66:67], v[74:75]
	v_add_f64 v[70:71], v[70:71], -v[141:142]
	v_add_f64 v[64:65], v[64:65], v[76:77]
	v_add_f64 v[66:67], v[66:67], v[78:79]
	;; [unrolled: 1-line block ×8, first 2 shown]
	v_mul_f64 v[56:57], v[118:119], s[26:27]
	v_mul_f64 v[58:59], v[118:119], s[20:21]
	v_add_f64 v[44:45], v[44:45], v[52:53]
	v_add_f64 v[46:47], v[46:47], v[54:55]
	v_mul_f64 v[52:53], v[118:119], s[48:49]
	v_mul_f64 v[54:55], v[118:119], s[24:25]
	v_fma_f64 v[66:67], v[114:115], s[28:29], v[56:57]
	v_fma_f64 v[56:57], v[114:115], s[28:29], -v[56:57]
	v_fma_f64 v[68:69], v[114:115], s[22:23], v[58:59]
	v_fma_f64 v[58:59], v[114:115], s[22:23], -v[58:59]
	v_add_f64 v[44:45], v[44:45], v[48:49]
	v_add_f64 v[46:47], v[46:47], v[50:51]
	v_mul_f64 v[50:51], v[118:119], s[44:45]
	v_fma_f64 v[62:63], v[114:115], s[42:43], v[52:53]
	v_fma_f64 v[52:53], v[114:115], s[42:43], -v[52:53]
	v_fma_f64 v[64:65], v[114:115], s[30:31], v[54:55]
	v_fma_f64 v[54:55], v[114:115], s[30:31], -v[54:55]
	v_mul_f64 v[48:49], v[135:136], s[8:9]
	v_add_f64 v[66:67], v[12:13], v[66:67]
	v_add_f64 v[56:57], v[12:13], v[56:57]
	;; [unrolled: 1-line block ×6, first 2 shown]
	v_mul_f64 v[46:47], v[114:115], s[10:11]
	v_fma_f64 v[60:61], v[114:115], s[36:37], v[50:51]
	v_fma_f64 v[50:51], v[114:115], s[36:37], -v[50:51]
	v_mul_f64 v[44:45], v[135:136], s[10:11]
	v_add_f64 v[62:63], v[12:13], v[62:63]
	v_add_f64 v[52:53], v[12:13], v[52:53]
	;; [unrolled: 1-line block ×7, first 2 shown]
	v_mul_f64 v[42:43], v[114:115], s[16:17]
	v_add_f64 v[46:47], v[46:47], -v[229:230]
	v_mul_f64 v[40:41], v[135:136], s[16:17]
	v_add_f64 v[60:61], v[12:13], v[60:61]
	v_add_f64 v[50:51], v[12:13], v[50:51]
	;; [unrolled: 1-line block ×3, first 2 shown]
	v_mul_f64 v[235:236], v[145:146], s[22:23]
	v_add_f64 v[32:33], v[36:37], v[32:33]
	v_add_f64 v[34:35], v[38:39], v[34:35]
	v_mul_f64 v[36:37], v[135:136], s[22:23]
	v_add_f64 v[42:43], v[42:43], -v[237:238]
	v_add_f64 v[40:41], v[239:240], v[40:41]
	v_mul_f64 v[237:238], v[139:140], s[56:57]
	v_add_f64 v[28:29], v[32:33], v[28:29]
	v_add_f64 v[30:31], v[34:35], v[30:31]
	v_mul_f64 v[32:33], v[135:136], s[28:29]
	v_fma_f64 v[38:39], v[125:126], s[56:57], v[36:37]
	v_add_f64 v[42:43], v[12:13], v[42:43]
	v_fma_f64 v[36:37], v[125:126], s[20:21], v[36:37]
	v_add_f64 v[40:41], v[14:15], v[40:41]
	v_add_f64 v[24:25], v[28:29], v[24:25]
	;; [unrolled: 1-line block ×3, first 2 shown]
	v_mul_f64 v[28:29], v[135:136], s[30:31]
	v_fma_f64 v[34:35], v[125:126], s[40:41], v[32:33]
	v_add_f64 v[118:119], v[14:15], v[38:39]
	v_add_f64 v[38:39], v[12:13], v[46:47]
	v_fma_f64 v[32:33], v[125:126], s[26:27], v[32:33]
	v_add_f64 v[20:21], v[24:25], v[20:21]
	v_mul_f64 v[24:25], v[135:136], s[42:43]
	v_add_f64 v[22:23], v[26:27], v[22:23]
	v_fma_f64 v[30:31], v[125:126], s[54:55], v[28:29]
	v_fma_f64 v[28:29], v[125:126], s[24:25], v[28:29]
	v_add_f64 v[78:79], v[14:15], v[34:35]
	v_add_f64 v[34:35], v[12:13], v[70:71]
	;; [unrolled: 1-line block ×5, first 2 shown]
	v_mul_f64 v[20:21], v[135:136], s[36:37]
	v_fma_f64 v[26:27], v[125:126], s[38:39], v[24:25]
	v_fma_f64 v[24:25], v[125:126], s[48:49], v[24:25]
	v_add_f64 v[18:19], v[22:23], v[18:19]
	v_add_f64 v[76:77], v[14:15], v[28:29]
	v_mul_f64 v[28:29], v[96:97], s[42:43]
	v_add_f64 v[74:75], v[14:15], v[30:31]
	v_fma_f64 v[22:23], v[125:126], s[34:35], v[20:21]
	v_fma_f64 v[20:21], v[125:126], s[44:45], v[20:21]
	v_add_f64 v[72:73], v[14:15], v[24:25]
	v_mul_f64 v[24:25], v[92:93], s[8:9]
	v_add_f64 v[26:27], v[14:15], v[26:27]
	v_fma_f64 v[30:31], v[86:87], s[38:39], v[28:29]
	v_add_f64 v[125:126], v[14:15], v[36:37]
	v_add_f64 v[36:37], v[14:15], v[44:45]
	;; [unrolled: 1-line block ×4, first 2 shown]
	v_fma_f64 v[12:13], v[82:83], s[4:5], v[24:25]
	v_fma_f64 v[24:25], v[82:83], s[52:53], v[24:25]
	v_add_f64 v[12:13], v[12:13], v[22:23]
	v_mul_f64 v[22:23], v[88:89], s[52:53]
	v_add_f64 v[20:21], v[24:25], v[20:21]
	v_fma_f64 v[24:25], v[86:87], s[48:49], v[28:29]
	v_fma_f64 v[28:29], v[131:132], s[22:23], -v[237:238]
	v_add_f64 v[12:13], v[30:31], v[12:13]
	v_fma_f64 v[14:15], v[80:81], s[8:9], v[22:23]
	v_mul_f64 v[30:31], v[90:91], s[48:49]
	v_fma_f64 v[22:23], v[80:81], s[8:9], -v[22:23]
	v_add_f64 v[20:21], v[24:25], v[20:21]
	v_add_f64 v[14:15], v[14:15], v[60:61]
	v_fma_f64 v[44:45], v[84:85], s[42:43], v[30:31]
	v_add_f64 v[22:23], v[22:23], v[50:51]
	v_fma_f64 v[24:25], v[84:85], s[42:43], -v[30:31]
	v_mul_f64 v[30:31], v[88:89], s[46:47]
	v_add_f64 v[14:15], v[44:45], v[14:15]
	v_mul_f64 v[44:45], v[108:109], s[10:11]
	v_add_f64 v[22:23], v[24:25], v[22:23]
	v_fma_f64 v[46:47], v[100:101], s[6:7], v[44:45]
	v_fma_f64 v[24:25], v[100:101], s[50:51], v[44:45]
	v_mul_f64 v[44:45], v[96:97], s[22:23]
	v_add_f64 v[12:13], v[46:47], v[12:13]
	v_mul_f64 v[46:47], v[94:95], s[50:51]
	v_add_f64 v[20:21], v[24:25], v[20:21]
	v_fma_f64 v[48:49], v[98:99], s[10:11], v[46:47]
	v_fma_f64 v[24:25], v[98:99], s[10:11], -v[46:47]
	v_fma_f64 v[46:47], v[86:87], s[56:57], v[44:45]
	v_fma_f64 v[44:45], v[86:87], s[20:21], v[44:45]
	v_add_f64 v[14:15], v[48:49], v[14:15]
	v_mul_f64 v[48:49], v[127:128], s[30:31]
	v_add_f64 v[22:23], v[24:25], v[22:23]
	v_fma_f64 v[60:61], v[104:105], s[54:55], v[48:49]
	v_fma_f64 v[24:25], v[104:105], s[24:25], v[48:49]
	v_add_f64 v[12:13], v[60:61], v[12:13]
	v_mul_f64 v[60:61], v[106:107], s[24:25]
	v_add_f64 v[20:21], v[24:25], v[20:21]
	v_fma_f64 v[70:71], v[102:103], s[30:31], v[60:61]
	v_fma_f64 v[24:25], v[102:103], s[30:31], -v[60:61]
	v_add_f64 v[14:15], v[70:71], v[14:15]
	v_mul_f64 v[70:71], v[137:138], s[16:17]
	v_add_f64 v[22:23], v[24:25], v[22:23]
	v_fma_f64 v[135:136], v[112:113], s[18:19], v[70:71]
	v_fma_f64 v[24:25], v[112:113], s[46:47], v[70:71]
	v_add_f64 v[12:13], v[135:136], v[12:13]
	v_mul_f64 v[135:136], v[116:117], s[46:47]
	v_add_f64 v[20:21], v[24:25], v[20:21]
	v_fma_f64 v[141:142], v[110:111], s[16:17], v[135:136]
	v_fma_f64 v[24:25], v[110:111], s[16:17], -v[135:136]
	v_add_f64 v[14:15], v[141:142], v[14:15]
	v_mul_f64 v[141:142], v[143:144], s[28:29]
	v_add_f64 v[22:23], v[24:25], v[22:23]
	v_fma_f64 v[149:150], v[120:121], s[40:41], v[141:142]
	v_fma_f64 v[24:25], v[120:121], s[26:27], v[141:142]
	v_add_f64 v[12:13], v[149:150], v[12:13]
	v_mul_f64 v[149:150], v[133:134], s[26:27]
	v_add_f64 v[20:21], v[24:25], v[20:21]
	v_fma_f64 v[24:25], v[122:123], s[28:29], -v[149:150]
	v_fma_f64 v[229:230], v[122:123], s[28:29], v[149:150]
	v_add_f64 v[24:25], v[24:25], v[22:23]
	v_fma_f64 v[22:23], v[129:130], s[56:57], v[235:236]
	v_add_f64 v[229:230], v[229:230], v[14:15]
	v_fma_f64 v[14:15], v[129:130], s[20:21], v[235:236]
	v_mul_f64 v[235:236], v[145:146], s[28:29]
	v_add_f64 v[22:23], v[22:23], v[20:21]
	v_add_f64 v[20:21], v[28:29], v[24:25]
	v_mul_f64 v[28:29], v[92:93], s[16:17]
	v_add_f64 v[14:15], v[14:15], v[12:13]
	v_fma_f64 v[12:13], v[131:132], s[22:23], v[237:238]
	v_mul_f64 v[237:238], v[139:140], s[26:27]
	v_fma_f64 v[24:25], v[82:83], s[18:19], v[28:29]
	v_fma_f64 v[28:29], v[82:83], s[46:47], v[28:29]
	v_add_f64 v[12:13], v[12:13], v[229:230]
	v_add_f64 v[24:25], v[24:25], v[26:27]
	v_fma_f64 v[26:27], v[80:81], s[16:17], v[30:31]
	v_add_f64 v[28:29], v[28:29], v[72:73]
	v_fma_f64 v[30:31], v[80:81], s[16:17], -v[30:31]
	v_mul_f64 v[72:73], v[137:138], s[30:31]
	v_add_f64 v[24:25], v[46:47], v[24:25]
	v_mul_f64 v[46:47], v[90:91], s[20:21]
	v_add_f64 v[26:27], v[26:27], v[62:63]
	v_add_f64 v[30:31], v[30:31], v[52:53]
	;; [unrolled: 1-line block ×3, first 2 shown]
	v_mul_f64 v[52:53], v[108:109], s[22:23]
	v_add_f64 v[72:73], v[219:220], v[72:73]
	v_fma_f64 v[48:49], v[84:85], s[22:23], v[46:47]
	v_fma_f64 v[44:45], v[84:85], s[22:23], -v[46:47]
	v_fma_f64 v[46:47], v[131:132], s[28:29], -v[237:238]
	v_add_f64 v[52:53], v[199:200], v[52:53]
	v_add_f64 v[26:27], v[48:49], v[26:27]
	v_mul_f64 v[48:49], v[108:109], s[30:31]
	v_add_f64 v[30:31], v[44:45], v[30:31]
	v_fma_f64 v[50:51], v[100:101], s[24:25], v[48:49]
	v_fma_f64 v[44:45], v[100:101], s[54:55], v[48:49]
	v_mul_f64 v[48:49], v[96:97], s[16:17]
	v_add_f64 v[24:25], v[50:51], v[24:25]
	v_mul_f64 v[50:51], v[94:95], s[54:55]
	v_add_f64 v[28:29], v[44:45], v[28:29]
	v_add_f64 v[48:49], v[187:188], v[48:49]
	v_fma_f64 v[60:61], v[98:99], s[30:31], v[50:51]
	v_fma_f64 v[44:45], v[98:99], s[30:31], -v[50:51]
	v_mul_f64 v[50:51], v[84:85], s[16:17]
	v_add_f64 v[26:27], v[60:61], v[26:27]
	v_mul_f64 v[60:61], v[127:128], s[8:9]
	v_add_f64 v[30:31], v[44:45], v[30:31]
	v_add_f64 v[50:51], v[50:51], -v[183:184]
	v_mul_f64 v[183:184], v[145:146], s[30:31]
	v_fma_f64 v[62:63], v[104:105], s[52:53], v[60:61]
	v_fma_f64 v[44:45], v[104:105], s[4:5], v[60:61]
	v_mul_f64 v[60:61], v[98:99], s[22:23]
	v_add_f64 v[24:25], v[62:63], v[24:25]
	v_mul_f64 v[62:63], v[106:107], s[4:5]
	v_add_f64 v[28:29], v[44:45], v[28:29]
	v_add_f64 v[60:61], v[60:61], -v[195:196]
	v_fma_f64 v[70:71], v[102:103], s[8:9], v[62:63]
	v_fma_f64 v[44:45], v[102:103], s[8:9], -v[62:63]
	v_mul_f64 v[62:63], v[127:128], s[28:29]
	v_add_f64 v[26:27], v[70:71], v[26:27]
	v_mul_f64 v[70:71], v[137:138], s[36:37]
	v_add_f64 v[30:31], v[44:45], v[30:31]
	v_add_f64 v[62:63], v[211:212], v[62:63]
	v_fma_f64 v[135:136], v[112:113], s[34:35], v[70:71]
	v_fma_f64 v[44:45], v[112:113], s[44:45], v[70:71]
	v_mul_f64 v[70:71], v[102:103], s[28:29]
	v_add_f64 v[24:25], v[135:136], v[24:25]
	v_mul_f64 v[135:136], v[116:117], s[44:45]
	v_add_f64 v[28:29], v[44:45], v[28:29]
	v_add_f64 v[70:71], v[70:71], -v[201:202]
	v_fma_f64 v[141:142], v[110:111], s[36:37], v[135:136]
	v_fma_f64 v[44:45], v[110:111], s[36:37], -v[135:136]
	v_mul_f64 v[135:136], v[108:109], s[8:9]
	v_add_f64 v[26:27], v[141:142], v[26:27]
	v_mul_f64 v[141:142], v[143:144], s[10:11]
	v_add_f64 v[30:31], v[44:45], v[30:31]
	v_fma_f64 v[149:150], v[120:121], s[6:7], v[141:142]
	v_fma_f64 v[44:45], v[120:121], s[50:51], v[141:142]
	v_mul_f64 v[141:142], v[90:91], s[40:41]
	v_add_f64 v[24:25], v[149:150], v[24:25]
	v_mul_f64 v[149:150], v[133:134], s[50:51]
	v_add_f64 v[28:29], v[44:45], v[28:29]
	v_fma_f64 v[44:45], v[122:123], s[10:11], -v[149:150]
	v_fma_f64 v[229:230], v[122:123], s[10:11], v[149:150]
	v_mul_f64 v[149:150], v[127:128], s[16:17]
	v_add_f64 v[44:45], v[44:45], v[30:31]
	v_fma_f64 v[30:31], v[129:130], s[26:27], v[235:236]
	v_add_f64 v[229:230], v[229:230], v[26:27]
	v_fma_f64 v[26:27], v[129:130], s[40:41], v[235:236]
	v_add_f64 v[30:31], v[30:31], v[28:29]
	v_add_f64 v[28:29], v[46:47], v[44:45]
	v_mul_f64 v[44:45], v[92:93], s[10:11]
	v_mul_f64 v[46:47], v[80:81], s[10:11]
	v_add_f64 v[26:27], v[26:27], v[24:25]
	v_fma_f64 v[24:25], v[131:132], s[28:29], v[237:238]
	v_add_f64 v[44:45], v[175:176], v[44:45]
	v_add_f64 v[46:47], v[46:47], -v[171:172]
	v_mul_f64 v[171:172], v[94:95], s[18:19]
	v_mul_f64 v[175:176], v[106:107], s[44:45]
	v_add_f64 v[24:25], v[24:25], v[229:230]
	v_add_f64 v[32:33], v[44:45], v[32:33]
	;; [unrolled: 1-line block ×3, first 2 shown]
	v_mul_f64 v[44:45], v[110:111], s[30:31]
	v_mul_f64 v[46:47], v[143:144], s[42:43]
	v_add_f64 v[32:33], v[48:49], v[32:33]
	v_add_f64 v[34:35], v[50:51], v[34:35]
	v_add_f64 v[44:45], v[44:45], -v[213:214]
	v_mul_f64 v[48:49], v[122:123], s[42:43]
	v_add_f64 v[46:47], v[227:228], v[46:47]
	v_mul_f64 v[50:51], v[145:146], s[36:37]
	v_add_f64 v[32:33], v[52:53], v[32:33]
	v_add_f64 v[34:35], v[60:61], v[34:35]
	v_mul_f64 v[52:53], v[108:109], s[36:37]
	v_add_f64 v[48:49], v[48:49], -v[223:224]
	v_mul_f64 v[60:61], v[98:99], s[36:37]
	v_add_f64 v[50:51], v[233:234], v[50:51]
	v_add_f64 v[32:33], v[62:63], v[32:33]
	;; [unrolled: 1-line block ×4, first 2 shown]
	v_mul_f64 v[62:63], v[127:128], s[42:43]
	v_add_f64 v[60:61], v[60:61], -v[173:174]
	v_mul_f64 v[70:71], v[102:103], s[42:43]
	v_mul_f64 v[173:174], v[137:138], s[22:23]
	;; [unrolled: 1-line block ×3, first 2 shown]
	v_add_f64 v[32:33], v[72:73], v[32:33]
	v_add_f64 v[34:35], v[44:45], v[34:35]
	v_mul_f64 v[44:45], v[131:132], s[36:37]
	v_add_f64 v[62:63], v[191:192], v[62:63]
	v_mul_f64 v[72:73], v[137:138], s[28:29]
	v_add_f64 v[70:71], v[70:71], -v[189:190]
	v_add_f64 v[32:33], v[46:47], v[32:33]
	v_add_f64 v[46:47], v[48:49], v[34:35]
	v_add_f64 v[44:45], v[44:45], -v[231:232]
	v_mul_f64 v[48:49], v[96:97], s[30:31]
	v_add_f64 v[72:73], v[207:208], v[72:73]
	v_add_f64 v[34:35], v[50:51], v[32:33]
	v_mul_f64 v[50:51], v[84:85], s[30:31]
	v_add_f64 v[32:33], v[44:45], v[46:47]
	v_mul_f64 v[44:45], v[92:93], s[22:23]
	v_mul_f64 v[46:47], v[80:81], s[22:23]
	v_add_f64 v[48:49], v[167:168], v[48:49]
	v_mul_f64 v[167:168], v[90:91], s[50:51]
	v_mul_f64 v[90:91], v[90:91], s[4:5]
	v_add_f64 v[50:51], v[50:51], -v[163:164]
	v_mul_f64 v[163:164], v[139:140], s[50:51]
	v_add_f64 v[44:45], v[159:160], v[44:45]
	v_add_f64 v[46:47], v[46:47], -v[157:158]
	v_mul_f64 v[157:158], v[143:144], s[30:31]
	v_mul_f64 v[159:160], v[133:134], s[54:55]
	v_add_f64 v[36:37], v[44:45], v[36:37]
	v_add_f64 v[38:39], v[46:47], v[38:39]
	v_mul_f64 v[44:45], v[110:111], s[28:29]
	v_mul_f64 v[46:47], v[143:144], s[16:17]
	v_add_f64 v[36:37], v[48:49], v[36:37]
	v_add_f64 v[38:39], v[50:51], v[38:39]
	v_add_f64 v[44:45], v[44:45], -v[203:204]
	v_mul_f64 v[48:49], v[122:123], s[16:17]
	v_add_f64 v[46:47], v[217:218], v[46:47]
	v_mul_f64 v[50:51], v[145:146], s[8:9]
	v_add_f64 v[36:37], v[52:53], v[36:37]
	v_add_f64 v[38:39], v[60:61], v[38:39]
	v_mul_f64 v[60:61], v[92:93], s[42:43]
	v_add_f64 v[48:49], v[48:49], -v[215:216]
	v_fma_f64 v[52:53], v[84:85], s[10:11], -v[167:168]
	v_add_f64 v[50:51], v[225:226], v[50:51]
	v_add_f64 v[36:37], v[62:63], v[36:37]
	v_add_f64 v[38:39], v[70:71], v[38:39]
	v_mul_f64 v[70:71], v[92:93], s[36:37]
	v_mul_f64 v[62:63], v[96:97], s[10:11]
	v_add_f64 v[36:37], v[72:73], v[36:37]
	v_add_f64 v[38:39], v[44:45], v[38:39]
	v_mul_f64 v[44:45], v[131:132], s[8:9]
	v_mul_f64 v[72:73], v[96:97], s[28:29]
	v_add_f64 v[36:37], v[46:47], v[36:37]
	v_add_f64 v[46:47], v[48:49], v[38:39]
	v_add_f64 v[44:45], v[44:45], -v[221:222]
	v_mul_f64 v[48:49], v[108:109], s[28:29]
	v_add_f64 v[38:39], v[50:51], v[36:37]
	v_mul_f64 v[50:51], v[84:85], s[36:37]
	v_add_f64 v[36:37], v[44:45], v[46:47]
	v_mul_f64 v[44:45], v[92:93], s[30:31]
	v_mul_f64 v[46:47], v[96:97], s[36:37]
	v_add_f64 v[48:49], v[165:166], v[48:49]
	v_mul_f64 v[165:166], v[88:89], s[38:39]
	v_add_f64 v[50:51], v[50:51], -v[153:154]
	v_mul_f64 v[153:154], v[137:138], s[42:43]
	v_add_f64 v[44:45], v[151:152], v[44:45]
	v_add_f64 v[46:47], v[155:156], v[46:47]
	v_mul_f64 v[151:152], v[106:107], s[18:19]
	v_mul_f64 v[155:156], v[116:117], s[48:49]
	;; [unrolled: 1-line block ×3, first 2 shown]
	v_add_f64 v[40:41], v[44:45], v[40:41]
	v_mul_f64 v[44:45], v[127:128], s[10:11]
	v_add_f64 v[40:41], v[46:47], v[40:41]
	v_mul_f64 v[46:47], v[80:81], s[30:31]
	;; [unrolled: 2-line block ×3, first 2 shown]
	v_mul_f64 v[116:117], v[116:117], s[6:7]
	v_add_f64 v[40:41], v[48:49], v[40:41]
	v_add_f64 v[46:47], v[46:47], -v[147:148]
	v_mul_f64 v[48:49], v[102:103], s[10:11]
	v_mul_f64 v[147:148], v[94:95], s[52:53]
	;; [unrolled: 1-line block ×3, first 2 shown]
	v_add_f64 v[40:41], v[44:45], v[40:41]
	v_add_f64 v[42:43], v[46:47], v[42:43]
	v_mul_f64 v[46:47], v[98:99], s[28:29]
	v_add_f64 v[48:49], v[48:49], -v[169:170]
	v_mul_f64 v[44:45], v[110:111], s[8:9]
	v_mul_f64 v[169:170], v[127:128], s[36:37]
	v_add_f64 v[42:43], v[50:51], v[42:43]
	v_add_f64 v[46:47], v[46:47], -v[161:162]
	v_mul_f64 v[161:162], v[145:146], s[10:11]
	v_add_f64 v[44:45], v[44:45], -v[181:182]
	v_fma_f64 v[50:51], v[86:87], s[50:51], v[62:63]
	v_mul_f64 v[181:182], v[133:134], s[4:5]
	v_fma_f64 v[62:63], v[86:87], s[6:7], v[62:63]
	v_add_f64 v[42:43], v[46:47], v[42:43]
	v_mul_f64 v[46:47], v[137:138], s[8:9]
	v_add_f64 v[42:43], v[48:49], v[42:43]
	v_add_f64 v[46:47], v[185:186], v[46:47]
	v_mul_f64 v[48:49], v[143:144], s[22:23]
	v_mul_f64 v[185:186], v[139:140], s[24:25]
	;; [unrolled: 1-line block ×3, first 2 shown]
	v_add_f64 v[42:43], v[44:45], v[42:43]
	v_add_f64 v[40:41], v[46:47], v[40:41]
	;; [unrolled: 1-line block ×3, first 2 shown]
	v_mul_f64 v[46:47], v[122:123], s[22:23]
	v_mul_f64 v[44:45], v[145:146], s[42:43]
	v_add_f64 v[40:41], v[48:49], v[40:41]
	v_add_f64 v[46:47], v[46:47], -v[193:194]
	v_add_f64 v[44:45], v[209:210], v[44:45]
	v_mul_f64 v[48:49], v[131:132], s[42:43]
	v_add_f64 v[46:47], v[46:47], v[42:43]
	v_add_f64 v[42:43], v[44:45], v[40:41]
	v_add_f64 v[48:49], v[48:49], -v[205:206]
	v_fma_f64 v[44:45], v[82:83], s[44:45], v[70:71]
	v_add_f64 v[40:41], v[48:49], v[46:47]
	v_add_f64 v[44:45], v[44:45], v[125:126]
	v_fma_f64 v[46:47], v[86:87], s[40:41], v[72:73]
	v_mul_f64 v[125:126], v[88:89], s[44:45]
	v_fma_f64 v[48:49], v[100:101], s[52:53], v[135:136]
	v_mul_f64 v[88:89], v[88:89], s[40:41]
	v_add_f64 v[44:45], v[46:47], v[44:45]
	v_fma_f64 v[46:47], v[80:81], s[36:37], -v[125:126]
	v_add_f64 v[44:45], v[48:49], v[44:45]
	v_add_f64 v[46:47], v[46:47], v[58:59]
	v_fma_f64 v[48:49], v[84:85], s[28:29], -v[141:142]
	v_mul_f64 v[58:59], v[96:97], s[8:9]
	v_add_f64 v[46:47], v[48:49], v[46:47]
	v_fma_f64 v[48:49], v[98:99], s[8:9], -v[147:148]
	v_add_f64 v[46:47], v[48:49], v[46:47]
	v_fma_f64 v[48:49], v[104:105], s[18:19], v[149:150]
	v_add_f64 v[44:45], v[48:49], v[44:45]
	v_fma_f64 v[48:49], v[102:103], s[16:17], -v[151:152]
	v_add_f64 v[46:47], v[48:49], v[46:47]
	v_fma_f64 v[48:49], v[112:113], s[48:49], v[153:154]
	v_add_f64 v[44:45], v[48:49], v[44:45]
	v_fma_f64 v[48:49], v[110:111], s[42:43], -v[155:156]
	v_add_f64 v[46:47], v[48:49], v[46:47]
	v_fma_f64 v[48:49], v[120:121], s[54:55], v[157:158]
	v_add_f64 v[44:45], v[48:49], v[44:45]
	v_fma_f64 v[48:49], v[122:123], s[30:31], -v[159:160]
	v_add_f64 v[48:49], v[48:49], v[46:47]
	v_fma_f64 v[46:47], v[129:130], s[50:51], v[161:162]
	v_add_f64 v[46:47], v[46:47], v[44:45]
	v_fma_f64 v[44:45], v[131:132], s[10:11], -v[163:164]
	v_add_f64 v[44:45], v[44:45], v[48:49]
	v_fma_f64 v[48:49], v[82:83], s[38:39], v[60:61]
	v_fma_f64 v[60:61], v[82:83], s[48:49], v[60:61]
	v_add_f64 v[48:49], v[48:49], v[114:115]
	v_mul_f64 v[114:115], v[108:109], s[16:17]
	v_add_f64 v[60:61], v[60:61], v[78:79]
	v_add_f64 v[48:49], v[50:51], v[48:49]
	v_fma_f64 v[50:51], v[100:101], s[18:19], v[114:115]
	v_add_f64 v[60:61], v[62:63], v[60:61]
	v_fma_f64 v[62:63], v[100:101], s[46:47], v[114:115]
	v_add_f64 v[48:49], v[50:51], v[48:49]
	v_fma_f64 v[50:51], v[80:81], s[42:43], -v[165:166]
	v_add_f64 v[60:61], v[62:63], v[60:61]
	v_fma_f64 v[62:63], v[104:105], s[34:35], v[169:170]
	v_add_f64 v[50:51], v[50:51], v[56:57]
	v_mul_f64 v[56:57], v[92:93], s[28:29]
	v_add_f64 v[60:61], v[62:63], v[60:61]
	v_fma_f64 v[62:63], v[80:81], s[42:43], v[165:166]
	v_add_f64 v[50:51], v[52:53], v[50:51]
	v_fma_f64 v[52:53], v[104:105], s[44:45], v[169:170]
	;; [unrolled: 2-line block ×3, first 2 shown]
	v_add_f64 v[48:49], v[52:53], v[48:49]
	v_fma_f64 v[52:53], v[98:99], s[16:17], -v[171:172]
	v_add_f64 v[50:51], v[52:53], v[50:51]
	v_fma_f64 v[52:53], v[112:113], s[56:57], v[173:174]
	v_add_f64 v[48:49], v[52:53], v[48:49]
	v_fma_f64 v[52:53], v[102:103], s[36:37], -v[175:176]
	v_add_f64 v[50:51], v[52:53], v[50:51]
	v_fma_f64 v[52:53], v[120:121], s[4:5], v[177:178]
	v_add_f64 v[48:49], v[52:53], v[48:49]
	v_fma_f64 v[52:53], v[110:111], s[22:23], -v[179:180]
	v_add_f64 v[50:51], v[52:53], v[50:51]
	v_fma_f64 v[52:53], v[122:123], s[8:9], -v[181:182]
	v_add_f64 v[52:53], v[52:53], v[50:51]
	v_fma_f64 v[50:51], v[129:130], s[24:25], v[183:184]
	v_add_f64 v[50:51], v[50:51], v[48:49]
	v_fma_f64 v[48:49], v[131:132], s[30:31], -v[185:186]
	v_add_f64 v[48:49], v[48:49], v[52:53]
	v_fma_f64 v[52:53], v[82:83], s[40:41], v[56:57]
	v_fma_f64 v[56:57], v[82:83], s[26:27], v[56:57]
	v_add_f64 v[52:53], v[52:53], v[76:77]
	v_fma_f64 v[76:77], v[86:87], s[4:5], v[58:59]
	v_add_f64 v[56:57], v[56:57], v[74:75]
	v_fma_f64 v[58:59], v[86:87], s[52:53], v[58:59]
	v_fma_f64 v[74:75], v[131:132], s[16:17], v[139:140]
	v_add_f64 v[52:53], v[76:77], v[52:53]
	v_mul_f64 v[76:77], v[108:109], s[42:43]
	v_add_f64 v[56:57], v[58:59], v[56:57]
	v_fma_f64 v[92:93], v[100:101], s[48:49], v[76:77]
	v_fma_f64 v[58:59], v[100:101], s[38:39], v[76:77]
	v_add_f64 v[52:53], v[92:93], v[52:53]
	v_mul_f64 v[92:93], v[127:128], s[22:23]
	;; [unrolled: 5-line block ×3, first 2 shown]
	v_add_f64 v[56:57], v[58:59], v[56:57]
	v_mul_f64 v[137:138], v[145:146], s[16:17]
	v_fma_f64 v[108:109], v[112:113], s[6:7], v[96:97]
	v_fma_f64 v[58:59], v[112:113], s[50:51], v[96:97]
	v_add_f64 v[52:53], v[108:109], v[52:53]
	v_mul_f64 v[108:109], v[143:144], s[36:37]
	v_add_f64 v[56:57], v[58:59], v[56:57]
	v_fma_f64 v[127:128], v[120:121], s[44:45], v[108:109]
	v_fma_f64 v[58:59], v[120:121], s[34:35], v[108:109]
	v_add_f64 v[52:53], v[127:128], v[52:53]
	v_fma_f64 v[127:128], v[80:81], s[28:29], -v[88:89]
	v_add_f64 v[56:57], v[58:59], v[56:57]
	v_fma_f64 v[58:59], v[80:81], s[28:29], v[88:89]
	v_add_f64 v[54:55], v[127:128], v[54:55]
	v_fma_f64 v[127:128], v[84:85], s[8:9], -v[90:91]
	v_add_f64 v[58:59], v[58:59], v[64:65]
	;; [unrolled: 4-line block ×5, first 2 shown]
	v_fma_f64 v[64:65], v[110:111], s[10:11], v[116:117]
	v_add_f64 v[54:55], v[127:128], v[54:55]
	v_mul_f64 v[127:128], v[133:134], s[44:45]
	v_add_f64 v[58:59], v[64:65], v[58:59]
	v_fma_f64 v[64:65], v[122:123], s[36:37], v[127:128]
	v_fma_f64 v[133:134], v[122:123], s[36:37], -v[127:128]
	v_add_f64 v[64:65], v[64:65], v[58:59]
	v_fma_f64 v[58:59], v[129:130], s[18:19], v[137:138]
	v_add_f64 v[133:134], v[133:134], v[54:55]
	v_fma_f64 v[54:55], v[129:130], s[46:47], v[137:138]
	v_add_f64 v[58:59], v[58:59], v[56:57]
	v_add_f64 v[56:57], v[74:75], v[64:65]
	v_fma_f64 v[64:65], v[84:85], s[10:11], v[167:168]
	v_add_f64 v[54:55], v[54:55], v[52:53]
	v_fma_f64 v[52:53], v[131:132], s[16:17], -v[139:140]
	v_mul_lo_u16 v74, v255, 17
	v_add_f64 v[62:63], v[64:65], v[62:63]
	v_fma_f64 v[64:65], v[98:99], s[16:17], v[171:172]
	v_add_f64 v[52:53], v[52:53], v[133:134]
	v_add_f64 v[62:63], v[64:65], v[62:63]
	v_fma_f64 v[64:65], v[102:103], s[36:37], v[175:176]
	v_add_f64 v[62:63], v[64:65], v[62:63]
	v_fma_f64 v[64:65], v[112:113], s[20:21], v[173:174]
	;; [unrolled: 2-line block ×6, first 2 shown]
	v_add_f64 v[62:63], v[62:63], v[60:61]
	v_add_f64 v[60:61], v[66:67], v[64:65]
	v_fma_f64 v[64:65], v[82:83], s[34:35], v[70:71]
	v_fma_f64 v[66:67], v[80:81], s[36:37], v[125:126]
	;; [unrolled: 1-line block ×4, first 2 shown]
	v_add_f64 v[64:65], v[64:65], v[118:119]
	v_add_f64 v[66:67], v[66:67], v[68:69]
	v_fma_f64 v[68:69], v[100:101], s[4:5], v[135:136]
	v_add_f64 v[64:65], v[70:71], v[64:65]
	v_add_f64 v[66:67], v[72:73], v[66:67]
	v_fma_f64 v[70:71], v[98:99], s[8:9], v[147:148]
	v_fma_f64 v[72:73], v[104:105], s[46:47], v[149:150]
	v_add_f64 v[64:65], v[68:69], v[64:65]
	v_fma_f64 v[68:69], v[102:103], s[16:17], v[151:152]
	v_add_f64 v[66:67], v[70:71], v[66:67]
	;; [unrolled: 2-line block ×8, first 2 shown]
	v_add_f64 v[66:67], v[72:73], v[64:65]
	v_and_b32_e32 v72, 0xffff, v74
	v_add_f64 v[64:65], v[68:69], v[70:71]
	buffer_load_dword v68, off, s[60:63], 0 ; 4-byte Folded Reload
	s_waitcnt vmcnt(0)
	v_add_lshl_u32 v68, v68, v72, 4
	ds_write_b128 v68, v[16:19]
	ds_write_b128 v68, v[32:35] offset:16
	ds_write_b128 v68, v[36:39] offset:32
	;; [unrolled: 1-line block ×16, first 2 shown]
.LBB0_7:
	s_or_b32 exec_lo, exec_lo, s33
	v_mul_u32_u24_e32 v12, 6, v255
	s_load_dwordx4 s[4:7], s[2:3], 0x0
	s_waitcnt lgkmcnt(0)
	s_barrier
	buffer_gl0_inv
	v_lshlrev_b32_e32 v36, 4, v12
	s_mov_b32 s16, 0x37e14327
	s_mov_b32 s2, 0x36b3c0b5
	;; [unrolled: 1-line block ×4, first 2 shown]
	s_clause 0x5
	global_load_dwordx4 v[20:23], v36, s[0:1]
	global_load_dwordx4 v[16:19], v36, s[0:1] offset:16
	global_load_dwordx4 v[205:208], v36, s[0:1] offset:32
	;; [unrolled: 1-line block ×5, first 2 shown]
	buffer_load_dword v37, off, s[60:63], 0 ; 4-byte Folded Reload
	s_mov_b32 s3, 0x3fac98ee
	s_mov_b32 s23, 0xbfe11646
	;; [unrolled: 1-line block ×16, first 2 shown]
	v_mul_i32_i24_e32 v135, 0xffffffb0, v255
	v_add_co_u32 v36, s0, s0, v36
	v_mul_hi_i32_i24_e32 v123, 0xffffffb0, v255
	s_waitcnt vmcnt(0)
	v_add_lshl_u32 v137, v37, v255, 4
	ds_read_b128 v[37:40], v137 offset:544
	ds_read_b128 v[41:44], v137 offset:1088
	;; [unrolled: 1-line block ×12, first 2 shown]
	s_waitcnt lgkmcnt(11)
	v_mul_f64 v[85:86], v[39:40], v[22:23]
	v_mul_f64 v[87:88], v[37:38], v[22:23]
	s_waitcnt lgkmcnt(10)
	v_mul_f64 v[89:90], v[43:44], v[18:19]
	v_mul_f64 v[91:92], v[41:42], v[18:19]
	;; [unrolled: 3-line block ×4, first 2 shown]
	v_mul_f64 v[93:94], v[47:48], v[207:208]
	v_mul_f64 v[95:96], v[45:46], v[207:208]
	s_waitcnt lgkmcnt(6)
	v_mul_f64 v[105:106], v[59:60], v[26:27]
	v_mul_f64 v[107:108], v[57:58], v[26:27]
	s_waitcnt lgkmcnt(5)
	;; [unrolled: 3-line block ×5, first 2 shown]
	v_mul_f64 v[131:132], v[83:84], v[34:35]
	v_mul_f64 v[133:134], v[81:82], v[34:35]
	v_mul_f64 v[117:118], v[71:72], v[207:208]
	v_mul_f64 v[119:120], v[69:70], v[207:208]
	v_mul_f64 v[127:128], v[75:76], v[26:27]
	v_mul_f64 v[129:130], v[73:74], v[26:27]
	v_fma_f64 v[85:86], v[37:38], v[20:21], -v[85:86]
	v_fma_f64 v[87:88], v[39:40], v[20:21], v[87:88]
	v_fma_f64 v[89:90], v[41:42], v[16:17], -v[89:90]
	v_fma_f64 v[91:92], v[43:44], v[16:17], v[91:92]
	;; [unrolled: 2-line block ×12, first 2 shown]
	ds_read_b128 v[37:40], v137
	ds_read_b128 v[41:44], v137 offset:272
	v_add_co_ci_u32_e64 v131, null, s1, 0, s0
	v_add_f64 v[93:94], v[85:86], v[49:50]
	v_add_f64 v[95:96], v[87:88], v[51:52]
	;; [unrolled: 1-line block ×4, first 2 shown]
	v_add_f64 v[49:50], v[85:86], -v[49:50]
	v_add_f64 v[51:52], v[87:88], -v[51:52]
	v_add_f64 v[85:86], v[45:46], v[57:58]
	v_add_f64 v[87:88], v[47:48], v[59:60]
	v_add_f64 v[45:46], v[57:58], -v[45:46]
	v_add_f64 v[47:48], v[59:60], -v[47:48]
	v_add_f64 v[57:58], v[61:62], v[77:78]
	v_add_f64 v[59:60], v[63:64], v[79:80]
	v_add_f64 v[61:62], v[61:62], -v[77:78]
	v_add_f64 v[63:64], v[63:64], -v[79:80]
	v_add_f64 v[77:78], v[65:66], v[81:82]
	v_add_f64 v[79:80], v[67:68], v[83:84]
	v_add_f64 v[53:54], v[89:90], -v[53:54]
	v_add_f64 v[55:56], v[91:92], -v[55:56]
	;; [unrolled: 1-line block ×4, first 2 shown]
	v_add_f64 v[81:82], v[69:70], v[73:74]
	v_add_f64 v[83:84], v[71:72], v[75:76]
	v_add_f64 v[69:70], v[73:74], -v[69:70]
	v_add_f64 v[71:72], v[75:76], -v[71:72]
	v_add_f64 v[73:74], v[97:98], v[93:94]
	v_add_f64 v[75:76], v[99:100], v[95:96]
	v_add_f64 v[89:90], v[97:98], -v[93:94]
	v_add_f64 v[91:92], v[99:100], -v[95:96]
	;; [unrolled: 1-line block ×6, first 2 shown]
	s_waitcnt lgkmcnt(0)
	s_barrier
	buffer_gl0_inv
	v_add_f64 v[109:110], v[77:78], v[57:58]
	v_add_f64 v[111:112], v[79:80], v[59:60]
	;; [unrolled: 1-line block ×4, first 2 shown]
	v_add_f64 v[105:106], v[45:46], -v[53:54]
	v_add_f64 v[107:108], v[47:48], -v[55:56]
	v_add_f64 v[53:54], v[53:54], -v[49:50]
	v_add_f64 v[55:56], v[55:56], -v[51:52]
	v_add_f64 v[113:114], v[77:78], -v[57:58]
	v_add_f64 v[115:116], v[79:80], -v[59:60]
	v_add_f64 v[73:74], v[85:86], v[73:74]
	v_add_f64 v[75:76], v[87:88], v[75:76]
	v_add_f64 v[57:58], v[57:58], -v[81:82]
	v_add_f64 v[59:60], v[59:60], -v[83:84]
	;; [unrolled: 1-line block ×6, first 2 shown]
	v_add_f64 v[117:118], v[69:70], v[65:66]
	v_add_f64 v[119:120], v[71:72], v[67:68]
	v_add_f64 v[65:66], v[65:66], -v[61:62]
	v_add_f64 v[67:68], v[67:68], -v[63:64]
	v_add_f64 v[81:82], v[81:82], v[109:110]
	v_add_f64 v[83:84], v[83:84], v[111:112]
	v_add_f64 v[45:46], v[49:50], -v[45:46]
	v_add_f64 v[47:48], v[51:52], -v[47:48]
	v_add_f64 v[49:50], v[101:102], v[49:50]
	v_add_f64 v[51:52], v[103:104], v[51:52]
	v_mul_f64 v[85:86], v[93:94], s[16:17]
	v_mul_f64 v[87:88], v[95:96], s[16:17]
	;; [unrolled: 1-line block ×6, first 2 shown]
	v_add_f64 v[37:38], v[37:38], v[73:74]
	v_add_f64 v[39:40], v[39:40], v[75:76]
	v_mul_f64 v[105:106], v[53:54], s[8:9]
	v_mul_f64 v[107:108], v[55:56], s[8:9]
	v_add_f64 v[69:70], v[61:62], -v[69:70]
	v_add_f64 v[71:72], v[63:64], -v[71:72]
	v_mul_f64 v[57:58], v[57:58], s[16:17]
	v_mul_f64 v[59:60], v[59:60], s[16:17]
	;; [unrolled: 1-line block ×4, first 2 shown]
	v_add_f64 v[41:42], v[41:42], v[81:82]
	v_add_f64 v[43:44], v[43:44], v[83:84]
	v_mul_f64 v[121:122], v[65:66], s[8:9]
	v_mul_f64 v[125:126], v[67:68], s[8:9]
	v_add_f64 v[61:62], v[117:118], v[61:62]
	v_add_f64 v[63:64], v[119:120], v[63:64]
	v_mul_f64 v[117:118], v[77:78], s[2:3]
	v_mul_f64 v[119:120], v[79:80], s[2:3]
	v_fma_f64 v[97:98], v[97:98], s[2:3], v[85:86]
	v_fma_f64 v[99:100], v[99:100], s[2:3], v[87:88]
	v_fma_f64 v[93:94], v[89:90], s[20:21], -v[93:94]
	v_fma_f64 v[95:96], v[91:92], s[20:21], -v[95:96]
	;; [unrolled: 1-line block ×4, first 2 shown]
	v_fma_f64 v[89:90], v[45:46], s[26:27], v[101:102]
	v_fma_f64 v[91:92], v[47:48], s[26:27], v[103:104]
	;; [unrolled: 1-line block ×4, first 2 shown]
	v_fma_f64 v[45:46], v[45:46], s[28:29], -v[105:106]
	v_fma_f64 v[47:48], v[47:48], s[28:29], -v[107:108]
	;; [unrolled: 1-line block ×4, first 2 shown]
	v_fma_f64 v[101:102], v[69:70], s[26:27], v[109:110]
	v_fma_f64 v[103:104], v[71:72], s[26:27], v[111:112]
	v_fma_f64 v[77:78], v[77:78], s[2:3], v[57:58]
	v_fma_f64 v[79:80], v[79:80], s[2:3], v[59:60]
	v_fma_f64 v[81:82], v[81:82], s[10:11], v[41:42]
	v_fma_f64 v[83:84], v[83:84], s[10:11], v[43:44]
	v_fma_f64 v[69:70], v[69:70], s[28:29], -v[121:122]
	v_fma_f64 v[71:72], v[71:72], s[28:29], -v[125:126]
	;; [unrolled: 1-line block ×8, first 2 shown]
	v_fma_f64 v[89:90], v[49:50], s[24:25], v[89:90]
	v_fma_f64 v[91:92], v[51:52], s[24:25], v[91:92]
	v_add_f64 v[97:98], v[97:98], v[73:74]
	v_add_f64 v[99:100], v[99:100], v[75:76]
	v_fma_f64 v[113:114], v[49:50], s[24:25], v[45:46]
	v_fma_f64 v[115:116], v[51:52], s[24:25], v[47:48]
	v_add_f64 v[85:86], v[85:86], v[73:74]
	v_add_f64 v[87:88], v[87:88], v[75:76]
	;; [unrolled: 4-line block ×6, first 2 shown]
	v_add_f64 v[45:46], v[91:92], v[97:98]
	v_add_f64 v[47:48], v[99:100], -v[89:90]
	v_add_f64 v[65:66], v[97:98], -v[91:92]
	v_add_f64 v[67:68], v[89:90], v[99:100]
	v_add_f64 v[49:50], v[115:116], v[85:86]
	v_add_f64 v[51:52], v[87:88], -v[113:114]
	v_add_f64 v[61:62], v[85:86], -v[115:116]
	v_add_f64 v[63:64], v[113:114], v[87:88]
	v_add_f64 v[53:54], v[73:74], -v[111:112]
	v_add_f64 v[55:56], v[109:110], v[75:76]
	v_add_f64 v[57:58], v[111:112], v[73:74]
	v_add_f64 v[59:60], v[75:76], -v[109:110]
	v_add_f64 v[69:70], v[103:104], v[121:122]
	v_add_f64 v[71:72], v[125:126], -v[101:102]
	v_add_f64 v[89:90], v[121:122], -v[103:104]
	v_add_f64 v[91:92], v[101:102], v[125:126]
	v_add_f64 v[73:74], v[119:120], v[127:128]
	v_add_f64 v[75:76], v[129:130], -v[117:118]
	v_add_f64 v[85:86], v[127:128], -v[119:120]
	v_add_f64 v[87:88], v[117:118], v[129:130]
	v_add_f64 v[77:78], v[105:106], -v[95:96]
	v_add_f64 v[79:80], v[93:94], v[107:108]
	v_add_f64 v[81:82], v[95:96], v[105:106]
	v_add_f64 v[83:84], v[107:108], -v[93:94]
	v_add_co_u32 v93, s0, v36, v135
	v_add_co_ci_u32_e64 v94, s0, v131, v123, s0
	ds_write_b128 v137, v[37:40]
	ds_write_b128 v137, v[41:44] offset:1904
	ds_write_b128 v137, v[45:48] offset:272
	;; [unrolled: 1-line block ×13, first 2 shown]
	v_add_co_u32 v95, s0, 0x800, v93
	v_add_co_ci_u32_e64 v96, s0, 0, v94, s0
	v_add_co_u32 v60, s0, 0x660, v93
	v_add_co_ci_u32_e64 v61, s0, 0, v94, s0
	s_waitcnt lgkmcnt(0)
	s_barrier
	buffer_gl0_inv
	s_clause 0x6
	global_load_dwordx4 v[213:216], v[93:94], off offset:1632
	global_load_dwordx4 v[209:212], v[93:94], off offset:1904
	;; [unrolled: 1-line block ×7, first 2 shown]
	ds_read_b128 v[64:67], v137 offset:1904
	ds_read_b128 v[68:71], v137 offset:2176
	ds_read_b128 v[72:75], v137 offset:2448
	ds_read_b128 v[76:79], v137 offset:2720
	ds_read_b128 v[80:83], v137 offset:2992
	ds_read_b128 v[84:87], v137 offset:3264
	ds_read_b128 v[88:91], v137 offset:3536
	ds_read_b128 v[104:107], v137 offset:1632
	ds_read_b128 v[96:99], v137
	ds_read_b128 v[112:115], v137 offset:272
	ds_read_b128 v[116:119], v137 offset:544
	;; [unrolled: 1-line block ×5, first 2 shown]
	buffer_load_dword v36, off, s[60:63], 0 offset:4 ; 4-byte Folded Reload
	s_waitcnt vmcnt(7) lgkmcnt(13)
	v_mul_f64 v[92:93], v[66:67], v[215:216]
	v_mul_f64 v[94:95], v[64:65], v[215:216]
	s_waitcnt vmcnt(6) lgkmcnt(12)
	v_mul_f64 v[100:101], v[70:71], v[211:212]
	v_mul_f64 v[102:103], v[68:69], v[211:212]
	;; [unrolled: 3-line block ×7, first 2 shown]
	v_fma_f64 v[64:65], v[64:65], v[213:214], -v[92:93]
	v_fma_f64 v[66:67], v[66:67], v[213:214], v[94:95]
	v_fma_f64 v[92:93], v[68:69], v[209:210], -v[100:101]
	v_fma_f64 v[94:95], v[70:71], v[209:210], v[102:103]
	;; [unrolled: 2-line block ×7, first 2 shown]
	s_waitcnt vmcnt(0)
	v_lshl_add_u32 v138, v255, 4, v36
	s_waitcnt lgkmcnt(5)
	v_add_f64 v[68:69], v[96:97], -v[64:65]
	v_add_f64 v[70:71], v[98:99], -v[66:67]
	s_waitcnt lgkmcnt(4)
	v_add_f64 v[72:73], v[112:113], -v[92:93]
	v_add_f64 v[74:75], v[114:115], -v[94:95]
	;; [unrolled: 3-line block ×6, first 2 shown]
	v_add_f64 v[92:93], v[104:105], -v[133:134]
	v_add_f64 v[94:95], v[106:107], -v[135:136]
	v_fma_f64 v[64:65], v[96:97], 2.0, -v[68:69]
	v_fma_f64 v[66:67], v[98:99], 2.0, -v[70:71]
	;; [unrolled: 1-line block ×14, first 2 shown]
	v_add_nc_u32_e32 v125, v242, v36
	ds_write_b128 v138, v[68:71] offset:1904
	ds_write_b128 v138, v[72:75] offset:2176
	ds_write_b128 v138, v[64:67]
	ds_write_b128 v138, v[76:79] offset:272
	ds_write_b128 v138, v[84:87] offset:544
	;; [unrolled: 1-line block ×11, first 2 shown]
	s_waitcnt lgkmcnt(0)
	s_barrier
	buffer_gl0_inv
	s_and_saveexec_b32 s1, vcc_lo
	s_cbranch_execz .LBB0_9
; %bb.8:
	s_add_u32 s2, s12, 0xee0
	s_addc_u32 s3, s13, 0
	v_add_co_u32 v36, s0, s2, v242
	s_clause 0x9
	global_load_dwordx4 v[120:123], v242, s[2:3]
	global_load_dwordx4 v[126:129], v242, s[2:3] offset:224
	global_load_dwordx4 v[130:133], v242, s[2:3] offset:448
	;; [unrolled: 1-line block ×9, first 2 shown]
	v_add_co_ci_u32_e64 v37, null, s3, 0, s0
	v_add_co_u32 v195, s0, 0x800, v36
	v_or_b32_e32 v36, 0xe00, v242
	v_add_co_ci_u32_e64 v196, s0, 0, v37, s0
	global_load_dwordx4 v[167:170], v[195:196], off offset:192
	ds_read_b128 v[171:174], v138
	ds_read_b128 v[175:178], v138 offset:224
	ds_read_b128 v[183:186], v138 offset:448
	global_load_dwordx4 v[179:182], v36, s[2:3]
	s_waitcnt vmcnt(11) lgkmcnt(2)
	v_mul_f64 v[134:135], v[173:174], v[122:123]
	v_mul_f64 v[122:123], v[171:172], v[122:123]
	s_waitcnt vmcnt(10) lgkmcnt(1)
	v_mul_f64 v[187:188], v[177:178], v[128:129]
	v_mul_f64 v[128:129], v[175:176], v[128:129]
	v_fma_f64 v[171:172], v[171:172], v[120:121], -v[134:135]
	v_fma_f64 v[173:174], v[173:174], v[120:121], v[122:123]
	ds_read_b128 v[120:123], v138 offset:672
	s_waitcnt vmcnt(9) lgkmcnt(1)
	v_mul_f64 v[189:190], v[185:186], v[132:133]
	v_mul_f64 v[191:192], v[183:184], v[132:133]
	v_fma_f64 v[132:133], v[175:176], v[126:127], -v[187:188]
	v_fma_f64 v[134:135], v[177:178], v[126:127], v[128:129]
	ds_read_b128 v[126:129], v138 offset:896
	;; [unrolled: 6-line block ×4, first 2 shown]
	ds_read_b128 v[187:190], v138 offset:1568
	s_waitcnt vmcnt(6) lgkmcnt(2)
	v_mul_f64 v[191:192], v[185:186], v[149:150]
	v_fma_f64 v[126:127], v[126:127], v[143:144], -v[130:131]
	v_mul_f64 v[130:131], v[183:184], v[149:150]
	v_fma_f64 v[128:129], v[128:129], v[143:144], v[145:146]
	s_waitcnt vmcnt(5) lgkmcnt(1)
	v_mul_f64 v[193:194], v[141:142], v[153:154]
	v_mul_f64 v[153:154], v[139:140], v[153:154]
	s_waitcnt vmcnt(4) lgkmcnt(0)
	v_mul_f64 v[197:198], v[189:190], v[157:158]
	v_fma_f64 v[143:144], v[183:184], v[147:148], -v[191:192]
	v_fma_f64 v[145:146], v[185:186], v[147:148], v[130:131]
	v_mul_f64 v[130:131], v[187:188], v[157:158]
	ds_read_b128 v[147:150], v138 offset:1792
	v_fma_f64 v[139:140], v[139:140], v[151:152], -v[193:194]
	v_fma_f64 v[141:142], v[141:142], v[151:152], v[153:154]
	ds_read_b128 v[151:154], v138 offset:2016
	v_fma_f64 v[183:184], v[187:188], v[155:156], -v[197:198]
	s_waitcnt vmcnt(3) lgkmcnt(1)
	v_mul_f64 v[191:192], v[149:150], v[161:162]
	v_mul_f64 v[161:162], v[147:148], v[161:162]
	v_fma_f64 v[185:186], v[189:190], v[155:156], v[130:131]
	global_load_dwordx4 v[155:158], v[195:196], off offset:416
	s_waitcnt vmcnt(3) lgkmcnt(0)
	v_mul_f64 v[130:131], v[153:154], v[165:166]
	v_mul_f64 v[165:166], v[151:152], v[165:166]
	v_fma_f64 v[147:148], v[147:148], v[159:160], -v[191:192]
	v_fma_f64 v[149:150], v[149:150], v[159:160], v[161:162]
	ds_read_b128 v[159:162], v138 offset:2240
	ds_read_b128 v[187:190], v138 offset:2464
	v_fma_f64 v[151:152], v[151:152], v[163:164], -v[130:131]
	v_fma_f64 v[153:154], v[153:154], v[163:164], v[165:166]
	global_load_dwordx4 v[163:166], v[195:196], off offset:640
	s_waitcnt vmcnt(3) lgkmcnt(1)
	v_mul_f64 v[191:192], v[161:162], v[169:170]
	v_mul_f64 v[130:131], v[159:160], v[169:170]
	v_fma_f64 v[159:160], v[159:160], v[167:168], -v[191:192]
	v_fma_f64 v[161:162], v[161:162], v[167:168], v[130:131]
	global_load_dwordx4 v[167:170], v[195:196], off offset:864
	s_waitcnt vmcnt(2) lgkmcnt(0)
	v_mul_f64 v[130:131], v[189:190], v[157:158]
	v_mul_f64 v[157:158], v[187:188], v[157:158]
	v_fma_f64 v[187:188], v[187:188], v[155:156], -v[130:131]
	v_fma_f64 v[189:190], v[189:190], v[155:156], v[157:158]
	ds_read_b128 v[155:158], v138 offset:2688
	ds_read_b128 v[191:194], v138 offset:2912
	s_waitcnt vmcnt(1) lgkmcnt(1)
	v_mul_f64 v[130:131], v[157:158], v[165:166]
	v_mul_f64 v[165:166], v[155:156], v[165:166]
	v_fma_f64 v[155:156], v[155:156], v[163:164], -v[130:131]
	v_fma_f64 v[157:158], v[157:158], v[163:164], v[165:166]
	s_waitcnt vmcnt(0) lgkmcnt(0)
	v_mul_f64 v[130:131], v[193:194], v[169:170]
	v_mul_f64 v[165:166], v[191:192], v[169:170]
	v_fma_f64 v[163:164], v[191:192], v[167:168], -v[130:131]
	v_fma_f64 v[165:166], v[193:194], v[167:168], v[165:166]
	s_clause 0x1
	global_load_dwordx4 v[167:170], v[195:196], off offset:1088
	global_load_dwordx4 v[191:194], v[195:196], off offset:1312
	ds_read_b128 v[195:198], v138 offset:3136
	ds_read_b128 v[199:202], v138 offset:3360
	s_waitcnt vmcnt(1) lgkmcnt(1)
	v_mul_f64 v[130:131], v[197:198], v[169:170]
	v_mul_f64 v[169:170], v[195:196], v[169:170]
	v_fma_f64 v[195:196], v[195:196], v[167:168], -v[130:131]
	v_fma_f64 v[197:198], v[197:198], v[167:168], v[169:170]
	s_waitcnt vmcnt(0) lgkmcnt(0)
	v_mul_f64 v[130:131], v[201:202], v[193:194]
	v_mul_f64 v[169:170], v[199:200], v[193:194]
	v_fma_f64 v[167:168], v[199:200], v[191:192], -v[130:131]
	v_fma_f64 v[169:170], v[201:202], v[191:192], v[169:170]
	ds_read_b128 v[191:194], v138 offset:3584
	s_waitcnt lgkmcnt(0)
	v_mul_f64 v[130:131], v[193:194], v[181:182]
	v_mul_f64 v[181:182], v[191:192], v[181:182]
	v_fma_f64 v[191:192], v[191:192], v[179:180], -v[130:131]
	v_fma_f64 v[193:194], v[193:194], v[179:180], v[181:182]
	ds_write_b128 v138, v[171:174]
	ds_write_b128 v138, v[132:135] offset:224
	ds_write_b128 v138, v[175:178] offset:448
	;; [unrolled: 1-line block ×16, first 2 shown]
.LBB0_9:
	s_or_b32 exec_lo, exec_lo, s1
	s_waitcnt lgkmcnt(0)
	s_barrier
	buffer_gl0_inv
	s_and_saveexec_b32 s0, vcc_lo
	s_cbranch_execz .LBB0_11
; %bb.10:
	ds_read_b128 v[64:67], v138
	ds_read_b128 v[68:71], v138 offset:224
	ds_read_b128 v[76:79], v138 offset:448
	;; [unrolled: 1-line block ×16, first 2 shown]
.LBB0_11:
	s_or_b32 exec_lo, exec_lo, s0
	v_add_nc_u32_e32 v120, 0x220, v125
	v_add_nc_u32_e32 v124, 0x330, v125
	;; [unrolled: 1-line block ×5, first 2 shown]
	s_waitcnt lgkmcnt(0)
	s_barrier
	buffer_gl0_inv
	s_and_saveexec_b32 s33, vcc_lo
	s_cbranch_execz .LBB0_13
; %bb.12:
	buffer_store_dword v120, off, s[60:63], 0 offset:24 ; 4-byte Folded Spill
	v_add_f64 v[120:121], v[66:67], v[70:71]
	v_add_f64 v[122:123], v[64:65], v[68:69]
	v_add_f64 v[148:149], v[68:69], -v[0:1]
	s_mov_b32 s24, 0xacd6c6b4
	s_mov_b32 s25, 0xbfc7851a
	v_add_f64 v[135:136], v[76:77], -v[4:5]
	v_add_f64 v[152:153], v[70:71], v[2:3]
	s_mov_b32 s34, 0x5d8e7cdc
	s_mov_b32 s0, 0x7faef3
	;; [unrolled: 1-line block ×4, first 2 shown]
	v_add_f64 v[133:134], v[78:79], -v[6:7]
	v_add_f64 v[150:151], v[70:71], -v[2:3]
	v_add_f64 v[154:155], v[68:69], v[0:1]
	s_mov_b32 s8, 0x370991
	s_mov_b32 s9, 0x3fedd6d0
	;; [unrolled: 1-line block ×8, first 2 shown]
	v_add_f64 v[120:121], v[120:121], v[78:79]
	v_add_f64 v[122:123], v[122:123], v[76:77]
	s_mov_b32 s16, 0x75d4884
	s_mov_b32 s17, 0x3fe7a5f6
	;; [unrolled: 1-line block ×9, first 2 shown]
	v_mul_f64 v[70:71], v[133:134], s[34:35]
	v_mul_f64 v[68:69], v[150:151], s[24:25]
	s_mov_b32 s21, 0x3fdc86fa
	s_mov_b32 s46, 0x923c349f
	;; [unrolled: 1-line block ×9, first 2 shown]
	v_add_f64 v[120:121], v[120:121], v[74:75]
	v_add_f64 v[122:123], v[122:123], v[72:73]
	s_mov_b32 s45, 0xbfefdd0d
	s_mov_b32 s44, s30
	;; [unrolled: 1-line block ×12, first 2 shown]
	v_mul_f64 v[56:57], v[135:136], s[44:45]
	v_mov_b32_e32 v12, v219
	v_mov_b32_e32 v13, v220
	;; [unrolled: 1-line block ×5, first 2 shown]
	v_add_f64 v[120:121], v[120:121], v[86:87]
	v_add_f64 v[122:123], v[122:123], v[84:85]
	;; [unrolled: 1-line block ×10, first 2 shown]
	v_add_f64 v[122:123], v[116:117], -v[108:109]
	v_add_f64 v[116:117], v[116:117], v[108:109]
	v_add_f64 v[120:121], v[118:119], v[110:111]
	v_add_f64 v[118:119], v[118:119], -v[110:111]
	v_add_f64 v[129:130], v[125:126], v[110:111]
	v_add_f64 v[108:109], v[127:128], v[108:109]
	v_add_f64 v[110:111], v[90:91], -v[114:115]
	v_add_f64 v[90:91], v[90:91], v[114:115]
	v_add_f64 v[125:126], v[88:89], -v[112:113]
	v_add_f64 v[88:89], v[88:89], v[112:113]
	v_mul_f64 v[166:167], v[122:123], s[30:31]
	v_mul_f64 v[168:169], v[118:119], s[30:31]
	;; [unrolled: 1-line block ×10, first 2 shown]
	v_add_f64 v[127:128], v[129:130], v[114:115]
	v_add_f64 v[129:130], v[108:109], v[112:113]
	v_add_f64 v[114:115], v[96:97], -v[100:101]
	v_add_f64 v[96:97], v[96:97], v[100:101]
	v_add_f64 v[108:109], v[98:99], v[102:103]
	v_add_f64 v[112:113], v[98:99], -v[102:103]
	v_add_f64 v[98:99], v[82:83], v[106:107]
	v_mul_f64 v[62:63], v[125:126], s[36:37]
	v_mul_f64 v[36:37], v[110:111], s[44:45]
	v_fma_f64 v[54:55], v[120:121], s[16:17], -v[52:53]
	v_add_f64 v[131:132], v[127:128], v[102:103]
	v_add_f64 v[100:101], v[129:130], v[100:101]
	v_add_f64 v[127:128], v[80:81], -v[104:105]
	v_add_f64 v[102:103], v[82:83], -v[106:107]
	v_add_f64 v[80:81], v[80:81], v[104:105]
	v_add_f64 v[82:83], v[84:85], v[92:93]
	v_mul_f64 v[240:241], v[114:115], s[38:39]
	v_mul_f64 v[48:49], v[112:113], s[36:37]
	v_fma_f64 v[38:39], v[88:89], s[22:23], v[36:37]
	v_add_f64 v[129:130], v[131:132], v[106:107]
	v_add_f64 v[100:101], v[100:101], v[104:105]
	v_add_f64 v[106:107], v[84:85], -v[92:93]
	v_add_f64 v[104:105], v[86:87], -v[94:95]
	v_add_f64 v[86:87], v[86:87], v[94:95]
	v_add_f64 v[131:132], v[72:73], -v[8:9]
	v_add_f64 v[84:85], v[72:73], v[8:9]
	v_mul_f64 v[200:201], v[127:128], s[46:47]
	v_mul_f64 v[44:45], v[102:103], s[50:51]
	v_fma_f64 v[50:51], v[96:97], s[2:3], v[48:49]
	v_add_f64 v[94:95], v[129:130], v[94:95]
	v_add_f64 v[100:101], v[100:101], v[92:93]
	v_add_f64 v[129:130], v[74:75], -v[10:11]
	v_add_f64 v[92:93], v[74:75], v[10:11]
	v_mul_f64 v[196:197], v[106:107], s[44:45]
	v_mul_f64 v[198:199], v[104:105], s[44:45]
	;; [unrolled: 1-line block ×4, first 2 shown]
	v_fma_f64 v[46:47], v[80:81], s[20:21], v[44:45]
	v_add_f64 v[10:11], v[94:95], v[10:11]
	v_add_f64 v[8:9], v[100:101], v[8:9]
	;; [unrolled: 1-line block ×4, first 2 shown]
	v_mul_f64 v[194:195], v[129:130], s[50:51]
	v_fma_f64 v[42:43], v[82:83], s[8:9], v[40:41]
	v_fma_f64 v[40:41], v[82:83], s[8:9], -v[40:41]
	v_add_f64 v[6:7], v[10:11], v[6:7]
	v_add_f64 v[4:5], v[8:9], v[4:5]
	v_mul_f64 v[8:9], v[148:149], s[24:25]
	v_mul_f64 v[10:11], v[135:136], s[34:35]
	v_fma_f64 v[72:73], v[100:101], s[8:9], -v[70:71]
	v_add_f64 v[2:3], v[6:7], v[2:3]
	v_add_f64 v[0:1], v[4:5], v[0:1]
	v_fma_f64 v[4:5], v[152:153], s[0:1], v[8:9]
	v_fma_f64 v[6:7], v[94:95], s[8:9], v[10:11]
	v_fma_f64 v[8:9], v[152:153], s[0:1], -v[8:9]
	v_fma_f64 v[10:11], v[94:95], s[8:9], -v[10:11]
	buffer_store_dword v0, off, s[60:63], 0 offset:28 ; 4-byte Folded Spill
	buffer_store_dword v1, off, s[60:63], 0 offset:32 ; 4-byte Folded Spill
	;; [unrolled: 1-line block ×4, first 2 shown]
	v_add_f64 v[4:5], v[66:67], v[4:5]
	v_add_f64 v[8:9], v[66:67], v[8:9]
	;; [unrolled: 1-line block ×3, first 2 shown]
	v_fma_f64 v[6:7], v[154:155], s[0:1], -v[68:69]
	v_add_f64 v[8:9], v[10:11], v[8:9]
	v_fma_f64 v[10:11], v[154:155], s[0:1], v[68:69]
	v_fma_f64 v[68:69], v[100:101], s[8:9], v[70:71]
	;; [unrolled: 1-line block ×3, first 2 shown]
	v_add_f64 v[6:7], v[64:65], v[6:7]
	v_add_f64 v[10:11], v[64:65], v[10:11]
	;; [unrolled: 1-line block ×3, first 2 shown]
	v_mul_f64 v[72:73], v[131:132], s[36:37]
	v_add_f64 v[10:11], v[68:69], v[10:11]
	v_fma_f64 v[74:75], v[92:93], s[2:3], v[72:73]
	v_fma_f64 v[68:69], v[92:93], s[2:3], -v[72:73]
	v_mul_f64 v[72:73], v[148:149], s[36:37]
	v_add_f64 v[4:5], v[74:75], v[4:5]
	v_mul_f64 v[74:75], v[129:130], s[36:37]
	v_add_f64 v[8:9], v[68:69], v[8:9]
	v_fma_f64 v[76:77], v[84:85], s[2:3], -v[74:75]
	v_fma_f64 v[68:69], v[84:85], s[2:3], v[74:75]
	v_mul_f64 v[74:75], v[135:136], s[42:43]
	v_add_f64 v[6:7], v[76:77], v[6:7]
	v_mul_f64 v[76:77], v[106:107], s[28:29]
	v_add_f64 v[10:11], v[68:69], v[10:11]
	v_fma_f64 v[78:79], v[86:87], s[16:17], v[76:77]
	v_fma_f64 v[68:69], v[86:87], s[16:17], -v[76:77]
	v_mul_f64 v[76:77], v[150:151], s[36:37]
	v_add_f64 v[4:5], v[78:79], v[4:5]
	v_mul_f64 v[78:79], v[104:105], s[28:29]
	v_add_f64 v[8:9], v[68:69], v[8:9]
	v_fma_f64 v[144:145], v[82:83], s[16:17], -v[78:79]
	v_fma_f64 v[68:69], v[82:83], s[16:17], v[78:79]
	v_mul_f64 v[78:79], v[133:134], s[42:43]
	v_add_f64 v[6:7], v[144:145], v[6:7]
	v_mul_f64 v[144:145], v[127:128], s[26:27]
	v_add_f64 v[10:11], v[68:69], v[10:11]
	v_fma_f64 v[146:147], v[98:99], s[10:11], v[144:145]
	v_fma_f64 v[68:69], v[98:99], s[10:11], -v[144:145]
	v_fma_f64 v[144:145], v[100:101], s[20:21], -v[78:79]
	v_add_f64 v[4:5], v[146:147], v[4:5]
	v_mul_f64 v[146:147], v[102:103], s[26:27]
	v_add_f64 v[8:9], v[68:69], v[8:9]
	v_fma_f64 v[156:157], v[80:81], s[10:11], -v[146:147]
	v_fma_f64 v[68:69], v[80:81], s[10:11], v[146:147]
	v_add_f64 v[6:7], v[156:157], v[6:7]
	v_mul_f64 v[156:157], v[114:115], s[42:43]
	v_add_f64 v[10:11], v[68:69], v[10:11]
	v_fma_f64 v[158:159], v[108:109], s[20:21], v[156:157]
	v_fma_f64 v[68:69], v[108:109], s[20:21], -v[156:157]
	v_add_f64 v[4:5], v[158:159], v[4:5]
	v_mul_f64 v[158:159], v[112:113], s[42:43]
	v_add_f64 v[8:9], v[68:69], v[8:9]
	v_fma_f64 v[160:161], v[96:97], s[20:21], -v[158:159]
	v_fma_f64 v[68:69], v[96:97], s[20:21], v[158:159]
	v_add_f64 v[6:7], v[160:161], v[6:7]
	v_mul_f64 v[160:161], v[125:126], s[46:47]
	v_add_f64 v[10:11], v[68:69], v[10:11]
	v_fma_f64 v[162:163], v[90:91], s[18:19], v[160:161]
	v_fma_f64 v[68:69], v[90:91], s[18:19], -v[160:161]
	v_add_f64 v[4:5], v[162:163], v[4:5]
	v_mul_f64 v[162:163], v[110:111], s[46:47]
	v_add_f64 v[8:9], v[68:69], v[8:9]
	v_fma_f64 v[164:165], v[88:89], s[18:19], -v[162:163]
	v_fma_f64 v[68:69], v[88:89], s[18:19], v[162:163]
	v_add_f64 v[164:165], v[164:165], v[6:7]
	v_fma_f64 v[6:7], v[120:121], s[22:23], v[166:167]
	v_add_f64 v[68:69], v[68:69], v[10:11]
	v_fma_f64 v[10:11], v[120:121], s[22:23], -v[166:167]
	v_add_f64 v[2:3], v[6:7], v[4:5]
	v_fma_f64 v[4:5], v[116:117], s[22:23], -v[168:169]
	v_add_f64 v[0:1], v[4:5], v[164:165]
	v_mul_f64 v[4:5], v[112:113], s[38:39]
	buffer_store_dword v0, off, s[60:63], 0 offset:44 ; 4-byte Folded Spill
	buffer_store_dword v1, off, s[60:63], 0 offset:48 ; 4-byte Folded Spill
	;; [unrolled: 1-line block ×4, first 2 shown]
	v_add_f64 v[0:1], v[70:71], v[68:69]
	v_fma_f64 v[68:69], v[152:153], s[2:3], v[72:73]
	v_fma_f64 v[70:71], v[94:95], s[20:21], v[74:75]
	v_fma_f64 v[72:73], v[152:153], s[2:3], -v[72:73]
	v_fma_f64 v[74:75], v[94:95], s[20:21], -v[74:75]
	v_add_f64 v[2:3], v[10:11], v[8:9]
	buffer_store_dword v0, off, s[60:63], 0 offset:60 ; 4-byte Folded Spill
	buffer_store_dword v1, off, s[60:63], 0 offset:64 ; 4-byte Folded Spill
	;; [unrolled: 1-line block ×4, first 2 shown]
	v_add_f64 v[68:69], v[66:67], v[68:69]
	v_add_f64 v[72:73], v[66:67], v[72:73]
	v_fma_f64 v[6:7], v[96:97], s[8:9], v[4:5]
	v_mul_f64 v[10:11], v[127:128], s[50:51]
	v_fma_f64 v[4:5], v[96:97], s[8:9], -v[4:5]
	v_add_f64 v[68:69], v[70:71], v[68:69]
	v_fma_f64 v[70:71], v[154:155], s[2:3], -v[76:77]
	v_add_f64 v[72:73], v[74:75], v[72:73]
	v_fma_f64 v[74:75], v[154:155], s[2:3], v[76:77]
	v_fma_f64 v[76:77], v[100:101], s[20:21], v[78:79]
	;; [unrolled: 1-line block ×3, first 2 shown]
	v_add_f64 v[70:71], v[64:65], v[70:71]
	v_add_f64 v[74:75], v[64:65], v[74:75]
	;; [unrolled: 1-line block ×3, first 2 shown]
	v_mul_f64 v[144:145], v[131:132], s[44:45]
	v_add_f64 v[74:75], v[76:77], v[74:75]
	v_fma_f64 v[146:147], v[92:93], s[22:23], v[144:145]
	v_fma_f64 v[76:77], v[92:93], s[22:23], -v[144:145]
	v_mul_f64 v[144:145], v[148:149], s[26:27]
	v_add_f64 v[68:69], v[146:147], v[68:69]
	v_mul_f64 v[146:147], v[129:130], s[44:45]
	v_add_f64 v[72:73], v[76:77], v[72:73]
	v_fma_f64 v[156:157], v[84:85], s[22:23], -v[146:147]
	v_fma_f64 v[76:77], v[84:85], s[22:23], v[146:147]
	v_mul_f64 v[146:147], v[135:136], s[48:49]
	v_add_f64 v[70:71], v[156:157], v[70:71]
	v_mul_f64 v[156:157], v[106:107], s[40:41]
	v_add_f64 v[74:75], v[76:77], v[74:75]
	v_fma_f64 v[158:159], v[86:87], s[10:11], v[156:157]
	v_fma_f64 v[76:77], v[86:87], s[10:11], -v[156:157]
	v_mul_f64 v[156:157], v[150:151], s[26:27]
	v_add_f64 v[68:69], v[158:159], v[68:69]
	v_mul_f64 v[158:159], v[104:105], s[40:41]
	v_add_f64 v[72:73], v[76:77], v[72:73]
	v_fma_f64 v[160:161], v[82:83], s[10:11], -v[158:159]
	v_fma_f64 v[76:77], v[82:83], s[10:11], v[158:159]
	v_mul_f64 v[158:159], v[133:134], s[48:49]
	v_add_f64 v[70:71], v[160:161], v[70:71]
	v_mul_f64 v[160:161], v[127:128], s[38:39]
	v_add_f64 v[74:75], v[76:77], v[74:75]
	v_fma_f64 v[162:163], v[98:99], s[8:9], v[160:161]
	v_fma_f64 v[76:77], v[98:99], s[8:9], -v[160:161]
	v_fma_f64 v[160:161], v[100:101], s[18:19], -v[158:159]
	v_add_f64 v[68:69], v[162:163], v[68:69]
	v_mul_f64 v[162:163], v[102:103], s[38:39]
	v_add_f64 v[72:73], v[76:77], v[72:73]
	v_fma_f64 v[164:165], v[80:81], s[8:9], -v[162:163]
	v_fma_f64 v[76:77], v[80:81], s[8:9], v[162:163]
	v_add_f64 v[70:71], v[164:165], v[70:71]
	v_mul_f64 v[164:165], v[114:115], s[24:25]
	v_add_f64 v[74:75], v[76:77], v[74:75]
	v_fma_f64 v[166:167], v[108:109], s[0:1], v[164:165]
	v_fma_f64 v[76:77], v[108:109], s[0:1], -v[164:165]
	v_add_f64 v[68:69], v[166:167], v[68:69]
	v_mul_f64 v[166:167], v[112:113], s[24:25]
	v_add_f64 v[72:73], v[76:77], v[72:73]
	v_fma_f64 v[168:169], v[96:97], s[0:1], -v[166:167]
	v_fma_f64 v[76:77], v[96:97], s[0:1], v[166:167]
	v_add_f64 v[70:71], v[168:169], v[70:71]
	v_mul_f64 v[168:169], v[125:126], s[28:29]
	v_add_f64 v[74:75], v[76:77], v[74:75]
	v_fma_f64 v[170:171], v[90:91], s[16:17], v[168:169]
	v_fma_f64 v[76:77], v[90:91], s[16:17], -v[168:169]
	v_add_f64 v[68:69], v[170:171], v[68:69]
	v_mul_f64 v[170:171], v[110:111], s[28:29]
	v_add_f64 v[72:73], v[76:77], v[72:73]
	v_fma_f64 v[172:173], v[88:89], s[16:17], -v[170:171]
	v_fma_f64 v[76:77], v[88:89], s[16:17], v[170:171]
	v_add_f64 v[172:173], v[172:173], v[70:71]
	v_fma_f64 v[70:71], v[120:121], s[18:19], v[174:175]
	v_add_f64 v[76:77], v[76:77], v[74:75]
	v_fma_f64 v[74:75], v[120:121], s[18:19], -v[174:175]
	v_add_f64 v[2:3], v[70:71], v[68:69]
	v_fma_f64 v[68:69], v[116:117], s[18:19], -v[176:177]
	v_mul_f64 v[70:71], v[122:123], s[24:25]
	v_add_f64 v[0:1], v[68:69], v[172:173]
	buffer_store_dword v0, off, s[60:63], 0 offset:76 ; 4-byte Folded Spill
	buffer_store_dword v1, off, s[60:63], 0 offset:80 ; 4-byte Folded Spill
	;; [unrolled: 1-line block ×4, first 2 shown]
	v_add_f64 v[0:1], v[78:79], v[76:77]
	v_fma_f64 v[76:77], v[152:153], s[10:11], v[144:145]
	v_fma_f64 v[78:79], v[94:95], s[18:19], v[146:147]
	v_fma_f64 v[144:145], v[152:153], s[10:11], -v[144:145]
	v_fma_f64 v[146:147], v[94:95], s[18:19], -v[146:147]
	v_add_f64 v[2:3], v[74:75], v[72:73]
	buffer_store_dword v0, off, s[60:63], 0 offset:92 ; 4-byte Folded Spill
	buffer_store_dword v1, off, s[60:63], 0 offset:96 ; 4-byte Folded Spill
	;; [unrolled: 1-line block ×4, first 2 shown]
	v_add_f64 v[76:77], v[66:67], v[76:77]
	v_add_f64 v[144:145], v[66:67], v[144:145]
	v_mul_f64 v[74:75], v[102:103], s[46:47]
	v_mul_f64 v[72:73], v[114:115], s[26:27]
	;; [unrolled: 1-line block ×3, first 2 shown]
	v_add_f64 v[76:77], v[78:79], v[76:77]
	v_fma_f64 v[78:79], v[154:155], s[10:11], -v[156:157]
	v_add_f64 v[144:145], v[146:147], v[144:145]
	v_fma_f64 v[146:147], v[154:155], s[10:11], v[156:157]
	v_fma_f64 v[156:157], v[100:101], s[18:19], v[158:159]
	;; [unrolled: 1-line block ×3, first 2 shown]
	v_add_f64 v[78:79], v[64:65], v[78:79]
	v_add_f64 v[146:147], v[64:65], v[146:147]
	;; [unrolled: 1-line block ×3, first 2 shown]
	v_mul_f64 v[160:161], v[131:132], s[38:39]
	v_add_f64 v[146:147], v[156:157], v[146:147]
	v_fma_f64 v[162:163], v[92:93], s[8:9], v[160:161]
	v_fma_f64 v[156:157], v[92:93], s[8:9], -v[160:161]
	v_mul_f64 v[160:161], v[148:149], s[50:51]
	v_add_f64 v[76:77], v[162:163], v[76:77]
	v_mul_f64 v[162:163], v[129:130], s[38:39]
	v_add_f64 v[144:145], v[156:157], v[144:145]
	v_fma_f64 v[164:165], v[84:85], s[8:9], -v[162:163]
	v_fma_f64 v[156:157], v[84:85], s[8:9], v[162:163]
	v_mul_f64 v[162:163], v[148:149], s[52:53]
	v_add_f64 v[78:79], v[164:165], v[78:79]
	v_mul_f64 v[164:165], v[106:107], s[36:37]
	v_add_f64 v[146:147], v[156:157], v[146:147]
	v_fma_f64 v[166:167], v[86:87], s[2:3], v[164:165]
	v_fma_f64 v[156:157], v[86:87], s[2:3], -v[164:165]
	v_add_f64 v[76:77], v[166:167], v[76:77]
	v_mul_f64 v[166:167], v[104:105], s[36:37]
	v_add_f64 v[144:145], v[156:157], v[144:145]
	v_fma_f64 v[168:169], v[82:83], s[2:3], -v[166:167]
	v_fma_f64 v[156:157], v[82:83], s[2:3], v[166:167]
	v_add_f64 v[78:79], v[168:169], v[78:79]
	v_mul_f64 v[168:169], v[127:128], s[30:31]
	v_add_f64 v[146:147], v[156:157], v[146:147]
	v_fma_f64 v[170:171], v[98:99], s[22:23], v[168:169]
	v_fma_f64 v[156:157], v[98:99], s[22:23], -v[168:169]
	v_fma_f64 v[168:169], v[152:153], s[20:21], v[160:161]
	v_fma_f64 v[160:161], v[152:153], s[20:21], -v[160:161]
	v_add_f64 v[76:77], v[170:171], v[76:77]
	v_mul_f64 v[170:171], v[102:103], s[30:31]
	v_add_f64 v[144:145], v[156:157], v[144:145]
	v_fma_f64 v[172:173], v[80:81], s[22:23], -v[170:171]
	v_fma_f64 v[156:157], v[80:81], s[22:23], v[170:171]
	v_fma_f64 v[170:171], v[152:153], s[16:17], -v[162:163]
	v_fma_f64 v[162:163], v[152:153], s[16:17], v[162:163]
	v_add_f64 v[78:79], v[172:173], v[78:79]
	v_mul_f64 v[172:173], v[114:115], s[52:53]
	v_add_f64 v[146:147], v[156:157], v[146:147]
	v_fma_f64 v[174:175], v[108:109], s[16:17], v[172:173]
	v_fma_f64 v[156:157], v[108:109], s[16:17], -v[172:173]
	v_add_f64 v[76:77], v[174:175], v[76:77]
	v_mul_f64 v[174:175], v[112:113], s[52:53]
	v_add_f64 v[144:145], v[156:157], v[144:145]
	v_fma_f64 v[176:177], v[96:97], s[16:17], -v[174:175]
	v_fma_f64 v[156:157], v[96:97], s[16:17], v[174:175]
	v_mul_f64 v[174:175], v[150:151], s[44:45]
	v_add_f64 v[78:79], v[176:177], v[78:79]
	v_mul_f64 v[176:177], v[125:126], s[24:25]
	v_add_f64 v[146:147], v[156:157], v[146:147]
	v_fma_f64 v[178:179], v[90:91], s[0:1], v[176:177]
	v_fma_f64 v[156:157], v[90:91], s[0:1], -v[176:177]
	v_mul_f64 v[176:177], v[150:151], s[50:51]
	v_add_f64 v[76:77], v[178:179], v[76:77]
	v_mul_f64 v[178:179], v[110:111], s[24:25]
	v_add_f64 v[144:145], v[156:157], v[144:145]
	v_fma_f64 v[180:181], v[88:89], s[0:1], -v[178:179]
	v_fma_f64 v[156:157], v[88:89], s[0:1], v[178:179]
	v_mul_f64 v[178:179], v[150:151], s[52:53]
	v_add_f64 v[180:181], v[180:181], v[78:79]
	v_fma_f64 v[78:79], v[120:121], s[20:21], v[182:183]
	v_add_f64 v[156:157], v[156:157], v[146:147]
	v_fma_f64 v[146:147], v[120:121], s[20:21], -v[182:183]
	v_fma_f64 v[182:183], v[154:155], s[22:23], -v[174:175]
	v_fma_f64 v[186:187], v[154:155], s[16:17], v[178:179]
	v_fma_f64 v[178:179], v[154:155], s[16:17], -v[178:179]
	v_fma_f64 v[174:175], v[154:155], s[22:23], v[174:175]
	v_add_f64 v[2:3], v[78:79], v[76:77]
	v_fma_f64 v[76:77], v[116:117], s[20:21], -v[184:185]
	v_fma_f64 v[184:185], v[154:155], s[20:21], -v[176:177]
	v_fma_f64 v[176:177], v[154:155], s[20:21], v[176:177]
	v_add_f64 v[0:1], v[76:77], v[180:181]
	buffer_store_dword v0, off, s[60:63], 0 offset:108 ; 4-byte Folded Spill
	buffer_store_dword v1, off, s[60:63], 0 offset:112 ; 4-byte Folded Spill
	buffer_store_dword v2, off, s[60:63], 0 offset:116 ; 4-byte Folded Spill
	buffer_store_dword v3, off, s[60:63], 0 offset:120 ; 4-byte Folded Spill
	v_add_f64 v[0:1], v[158:159], v[156:157]
	v_mul_f64 v[158:159], v[148:149], s[44:45]
	v_add_f64 v[2:3], v[146:147], v[144:145]
	buffer_store_dword v0, off, s[60:63], 0 offset:124 ; 4-byte Folded Spill
	buffer_store_dword v1, off, s[60:63], 0 offset:128 ; 4-byte Folded Spill
	;; [unrolled: 1-line block ×4, first 2 shown]
	v_fma_f64 v[166:167], v[152:153], s[22:23], v[158:159]
	v_mul_f64 v[156:157], v[148:149], s[46:47]
	v_mul_f64 v[148:149], v[148:149], s[38:39]
	v_fma_f64 v[158:159], v[152:153], s[22:23], -v[158:159]
	v_mul_f64 v[144:145], v[133:134], s[52:53]
	v_mul_f64 v[146:147], v[131:132], s[50:51]
	v_mov_b32_e32 v76, v209
	v_mov_b32_e32 v77, v210
	;; [unrolled: 1-line block ×8, first 2 shown]
	v_add_f64 v[0:1], v[66:67], v[166:167]
	buffer_store_dword v0, off, s[60:63], 0 offset:188 ; 4-byte Folded Spill
	buffer_store_dword v1, off, s[60:63], 0 offset:192 ; 4-byte Folded Spill
	v_add_f64 v[0:1], v[64:65], v[182:183]
	buffer_store_dword v0, off, s[60:63], 0 offset:180 ; 4-byte Folded Spill
	buffer_store_dword v1, off, s[60:63], 0 offset:184 ; 4-byte Folded Spill
	;; [unrolled: 3-line block ×3, first 2 shown]
	v_add_f64 v[0:1], v[66:67], v[162:163]
	v_fma_f64 v[164:165], v[152:153], s[18:19], v[156:157]
	v_fma_f64 v[156:157], v[152:153], s[18:19], -v[156:157]
	v_fma_f64 v[172:173], v[152:153], s[8:9], -v[148:149]
	v_fma_f64 v[148:149], v[152:153], s[8:9], v[148:149]
	v_mul_f64 v[152:153], v[150:151], s[46:47]
	v_mul_f64 v[150:151], v[150:151], s[38:39]
	buffer_store_dword v0, off, s[60:63], 0 offset:164 ; 4-byte Folded Spill
	buffer_store_dword v1, off, s[60:63], 0 offset:168 ; 4-byte Folded Spill
	v_add_f64 v[0:1], v[64:65], v[178:179]
	buffer_store_dword v0, off, s[60:63], 0 offset:156 ; 4-byte Folded Spill
	buffer_store_dword v1, off, s[60:63], 0 offset:160 ; 4-byte Folded Spill
	v_fma_f64 v[180:181], v[154:155], s[18:19], -v[152:153]
	v_fma_f64 v[152:153], v[154:155], s[18:19], v[152:153]
	v_fma_f64 v[188:189], v[154:155], s[8:9], v[150:151]
	v_add_f64 v[0:1], v[66:67], v[148:149]
	v_fma_f64 v[150:151], v[154:155], s[8:9], -v[150:151]
	buffer_store_dword v0, off, s[60:63], 0 offset:148 ; 4-byte Folded Spill
	buffer_store_dword v1, off, s[60:63], 0 offset:152 ; 4-byte Folded Spill
	v_add_f64 v[192:193], v[64:65], v[152:153]
	v_add_f64 v[152:153], v[66:67], v[160:161]
	;; [unrolled: 1-line block ×5, first 2 shown]
	v_mul_f64 v[188:189], v[135:136], s[52:53]
	v_add_f64 v[190:191], v[66:67], v[156:157]
	v_add_f64 v[202:203], v[64:65], v[180:181]
	;; [unrolled: 1-line block ×9, first 2 shown]
	v_fma_f64 v[66:67], v[100:101], s[16:17], v[144:145]
	v_fma_f64 v[148:149], v[92:93], s[20:21], -v[146:147]
	buffer_store_dword v0, off, s[60:63], 0 offset:140 ; 4-byte Folded Spill
	buffer_store_dword v1, off, s[60:63], 0 offset:144 ; 4-byte Folded Spill
	v_fma_f64 v[64:65], v[94:95], s[16:17], -v[188:189]
	buffer_store_dword v242, off, s[60:63], 0 offset:20 ; 4-byte Folded Spill
	v_add_f64 v[66:67], v[66:67], v[172:173]
	v_mov_b32_e32 v242, v255
	v_mov_b32_e32 v255, v60
	v_mul_f64 v[60:61], v[110:111], s[36:37]
	v_mov_b32_e32 v180, v223
	v_mov_b32_e32 v181, v224
	;; [unrolled: 1-line block ×4, first 2 shown]
	s_mov_b32 s47, 0x3fe0d888
	s_mov_b32 s46, s36
	v_mov_b32_e32 v166, v245
	v_mov_b32_e32 v167, v246
	;; [unrolled: 1-line block ×4, first 2 shown]
	v_mul_f64 v[0:1], v[102:103], s[28:29]
	v_add_f64 v[64:65], v[64:65], v[170:171]
	v_mov_b32_e32 v170, v213
	v_mov_b32_e32 v171, v214
	v_mov_b32_e32 v172, v215
	v_mov_b32_e32 v173, v216
	v_mov_b32_e32 v213, v227
	v_mov_b32_e32 v214, v228
	v_mov_b32_e32 v215, v229
	v_mov_b32_e32 v216, v230
	v_fma_f64 v[2:3], v[80:81], s[16:17], v[0:1]
	v_fma_f64 v[0:1], v[80:81], s[16:17], -v[0:1]
	v_add_f64 v[64:65], v[148:149], v[64:65]
	v_fma_f64 v[148:149], v[84:85], s[20:21], v[194:195]
	v_add_f64 v[66:67], v[148:149], v[66:67]
	v_fma_f64 v[148:149], v[86:87], s[22:23], -v[196:197]
	v_add_f64 v[64:65], v[148:149], v[64:65]
	v_fma_f64 v[148:149], v[82:83], s[22:23], v[198:199]
	v_add_f64 v[66:67], v[148:149], v[66:67]
	;; [unrolled: 4-line block ×6, first 2 shown]
	v_fma_f64 v[148:149], v[94:95], s[22:23], -v[56:57]
	v_add_f64 v[148:149], v[148:149], v[160:161]
	v_mul_f64 v[160:161], v[133:134], s[44:45]
	v_fma_f64 v[150:151], v[100:101], s[22:23], v[160:161]
	v_add_f64 v[150:151], v[150:151], v[176:177]
	v_mul_f64 v[176:177], v[131:132], s[26:27]
	v_fma_f64 v[218:219], v[92:93], s[10:11], -v[176:177]
	v_add_f64 v[148:149], v[218:219], v[148:149]
	v_mul_f64 v[218:219], v[129:130], s[26:27]
	v_fma_f64 v[220:221], v[84:85], s[10:11], v[218:219]
	v_add_f64 v[150:151], v[220:221], v[150:151]
	v_mul_f64 v[220:221], v[106:107], s[24:25]
	;; [unrolled: 6-line block ×4, first 2 shown]
	v_fma_f64 v[230:231], v[108:109], s[18:19], -v[228:229]
	v_add_f64 v[148:149], v[230:231], v[148:149]
	v_mul_f64 v[230:231], v[112:113], s[48:49]
	v_mul_f64 v[112:113], v[112:113], s[30:31]
	v_fma_f64 v[232:233], v[96:97], s[18:19], v[230:231]
	v_add_f64 v[150:151], v[232:233], v[150:151]
	v_mul_f64 v[232:233], v[125:126], s[42:43]
	v_fma_f64 v[234:235], v[90:91], s[20:21], -v[232:233]
	v_add_f64 v[148:149], v[234:235], v[148:149]
	v_mul_f64 v[234:235], v[110:111], s[42:43]
	s_mov_b32 s43, 0x3fc7851a
	s_mov_b32 s42, s24
	v_fma_f64 v[236:237], v[88:89], s[20:21], v[234:235]
	v_add_f64 v[236:237], v[236:237], v[150:151]
	v_fma_f64 v[150:151], v[120:121], s[8:9], -v[238:239]
	v_add_f64 v[150:151], v[150:151], v[148:149]
	v_fma_f64 v[148:149], v[116:117], s[8:9], v[243:244]
	v_add_f64 v[148:149], v[148:149], v[236:237]
	v_mul_f64 v[236:237], v[135:136], s[26:27]
	v_fma_f64 v[245:246], v[94:95], s[10:11], -v[236:237]
	v_add_f64 v[152:153], v[245:246], v[152:153]
	v_mul_f64 v[245:246], v[131:132], s[42:43]
	v_fma_f64 v[247:248], v[92:93], s[0:1], -v[245:246]
	v_add_f64 v[152:153], v[247:248], v[152:153]
	v_mul_f64 v[247:248], v[133:134], s[26:27]
	v_fma_f64 v[249:250], v[100:101], s[10:11], v[247:248]
	v_add_f64 v[154:155], v[249:250], v[154:155]
	v_mul_f64 v[249:250], v[106:107], s[48:49]
	v_fma_f64 v[251:252], v[86:87], s[18:19], -v[249:250]
	v_add_f64 v[152:153], v[251:252], v[152:153]
	v_mul_f64 v[251:252], v[129:130], s[42:43]
	v_fma_f64 v[253:254], v[84:85], s[0:1], v[251:252]
	v_add_f64 v[154:155], v[253:254], v[154:155]
	v_mul_f64 v[253:254], v[127:128], s[28:29]
	v_mul_f64 v[127:128], v[127:128], s[24:25]
	v_fma_f64 v[139:140], v[98:99], s[16:17], -v[253:254]
	v_add_f64 v[139:140], v[139:140], v[152:153]
	v_fma_f64 v[152:153], v[82:83], s[18:19], v[141:142]
	v_add_f64 v[152:153], v[152:153], v[154:155]
	v_fma_f64 v[154:155], v[108:109], s[8:9], -v[240:241]
	v_add_f64 v[2:3], v[2:3], v[152:153]
	v_add_f64 v[139:140], v[154:155], v[139:140]
	;; [unrolled: 1-line block ×3, first 2 shown]
	v_mul_f64 v[6:7], v[125:126], s[44:45]
	v_add_f64 v[2:3], v[38:39], v[2:3]
	v_fma_f64 v[152:153], v[90:91], s[22:23], -v[6:7]
	v_mul_f64 v[38:39], v[122:123], s[36:37]
	v_mul_f64 v[122:123], v[122:123], s[26:27]
	v_add_f64 v[139:140], v[152:153], v[139:140]
	v_fma_f64 v[152:153], v[120:121], s[2:3], -v[38:39]
	v_add_f64 v[154:155], v[152:153], v[139:140]
	v_mul_f64 v[139:140], v[118:119], s[36:37]
	v_fma_f64 v[152:153], v[116:117], s[2:3], v[139:140]
	v_add_f64 v[152:153], v[152:153], v[2:3]
	v_mul_f64 v[2:3], v[135:136], s[24:25]
	v_fma_f64 v[186:187], v[94:95], s[0:1], -v[2:3]
	v_fma_f64 v[2:3], v[94:95], s[0:1], v[2:3]
	v_add_f64 v[156:157], v[186:187], v[156:157]
	v_mul_f64 v[186:187], v[131:132], s[48:49]
	v_mul_f64 v[131:132], v[131:132], s[28:29]
	v_fma_f64 v[184:185], v[92:93], s[18:19], -v[186:187]
	v_add_f64 v[156:157], v[184:185], v[156:157]
	v_mul_f64 v[184:185], v[133:134], s[24:25]
	v_mul_f64 v[133:134], v[133:134], s[46:47]
	v_fma_f64 v[178:179], v[100:101], s[0:1], v[184:185]
	v_add_f64 v[158:159], v[178:179], v[158:159]
	v_mul_f64 v[178:179], v[106:107], s[34:35]
	v_mul_f64 v[106:107], v[106:107], s[50:51]
	v_fma_f64 v[162:163], v[86:87], s[8:9], -v[178:179]
	v_add_f64 v[156:157], v[162:163], v[156:157]
	v_mul_f64 v[162:163], v[129:130], s[48:49]
	v_mul_f64 v[129:130], v[129:130], s[28:29]
	v_fma_f64 v[8:9], v[84:85], s[18:19], v[162:163]
	v_add_f64 v[8:9], v[8:9], v[158:159]
	v_fma_f64 v[158:159], v[98:99], s[20:21], -v[10:11]
	v_fma_f64 v[10:11], v[98:99], s[20:21], v[10:11]
	v_add_f64 v[8:9], v[42:43], v[8:9]
	v_mul_f64 v[42:43], v[114:115], s[36:37]
	v_add_f64 v[156:157], v[158:159], v[156:157]
	v_mul_f64 v[114:115], v[114:115], s[30:31]
	v_add_f64 v[8:9], v[46:47], v[8:9]
	v_fma_f64 v[158:159], v[108:109], s[2:3], -v[42:43]
	v_mul_f64 v[46:47], v[125:126], s[40:41]
	v_mul_f64 v[125:126], v[125:126], s[38:39]
	v_add_f64 v[8:9], v[50:51], v[8:9]
	v_add_f64 v[156:157], v[158:159], v[156:157]
	v_fma_f64 v[158:159], v[90:91], s[10:11], -v[46:47]
	v_mul_f64 v[50:51], v[110:111], s[40:41]
	v_mul_f64 v[110:111], v[110:111], s[38:39]
	v_add_f64 v[156:157], v[158:159], v[156:157]
	v_fma_f64 v[158:159], v[88:89], s[10:11], v[50:51]
	v_add_f64 v[8:9], v[158:159], v[8:9]
	v_add_f64 v[158:159], v[54:55], v[156:157]
	v_mul_f64 v[54:55], v[118:119], s[28:29]
	v_mul_f64 v[118:119], v[118:119], s[26:27]
	v_fma_f64 v[156:157], v[116:117], s[16:17], v[54:55]
	v_add_f64 v[156:157], v[156:157], v[8:9]
	v_mul_f64 v[8:9], v[135:136], s[46:47]
	v_fma_f64 v[135:136], v[94:95], s[2:3], -v[8:9]
	v_fma_f64 v[8:9], v[94:95], s[2:3], v[8:9]
	v_add_f64 v[135:136], v[135:136], v[190:191]
	v_fma_f64 v[190:191], v[92:93], s[16:17], -v[131:132]
	v_add_f64 v[8:9], v[8:9], v[164:165]
	v_fma_f64 v[131:132], v[92:93], s[16:17], v[131:132]
	v_add_f64 v[135:136], v[190:191], v[135:136]
	v_fma_f64 v[190:191], v[86:87], s[20:21], -v[106:107]
	v_add_f64 v[8:9], v[131:132], v[8:9]
	v_fma_f64 v[131:132], v[100:101], s[2:3], -v[133:134]
	v_fma_f64 v[106:107], v[86:87], s[20:21], v[106:107]
	v_add_f64 v[135:136], v[190:191], v[135:136]
	v_fma_f64 v[190:191], v[98:99], s[0:1], -v[127:128]
	v_add_f64 v[131:132], v[131:132], v[202:203]
	v_add_f64 v[8:9], v[106:107], v[8:9]
	v_fma_f64 v[106:107], v[84:85], s[16:17], -v[129:130]
	v_fma_f64 v[127:128], v[98:99], s[0:1], v[127:128]
	v_add_f64 v[135:136], v[190:191], v[135:136]
	v_fma_f64 v[190:191], v[108:109], s[22:23], -v[114:115]
	v_fma_f64 v[114:115], v[108:109], s[22:23], v[114:115]
	v_add_f64 v[106:107], v[106:107], v[131:132]
	v_add_f64 v[8:9], v[127:128], v[8:9]
	;; [unrolled: 1-line block ×3, first 2 shown]
	v_fma_f64 v[190:191], v[100:101], s[2:3], v[133:134]
	v_add_f64 v[8:9], v[114:115], v[8:9]
	v_add_f64 v[190:191], v[190:191], v[192:193]
	v_fma_f64 v[192:193], v[90:91], s[8:9], -v[125:126]
	v_add_f64 v[135:136], v[192:193], v[135:136]
	v_fma_f64 v[192:193], v[84:85], s[16:17], v[129:130]
	v_add_f64 v[190:191], v[192:193], v[190:191]
	v_mul_f64 v[192:193], v[104:105], s[50:51]
	v_fma_f64 v[104:105], v[82:83], s[20:21], v[192:193]
	v_fma_f64 v[127:128], v[82:83], s[20:21], -v[192:193]
	v_add_f64 v[104:105], v[104:105], v[190:191]
	v_mul_f64 v[190:191], v[102:103], s[24:25]
	v_add_f64 v[106:107], v[127:128], v[106:107]
	v_fma_f64 v[102:103], v[80:81], s[0:1], v[190:191]
	v_fma_f64 v[114:115], v[80:81], s[0:1], -v[190:191]
	v_add_f64 v[102:103], v[102:103], v[104:105]
	v_fma_f64 v[104:105], v[96:97], s[22:23], v[112:113]
	v_add_f64 v[106:107], v[114:115], v[106:107]
	v_fma_f64 v[112:113], v[96:97], s[22:23], -v[112:113]
	v_fma_f64 v[114:115], v[90:91], s[8:9], v[125:126]
	v_add_f64 v[102:103], v[104:105], v[102:103]
	v_fma_f64 v[104:105], v[88:89], s[8:9], v[110:111]
	v_add_f64 v[106:107], v[112:113], v[106:107]
	v_fma_f64 v[110:111], v[88:89], s[8:9], -v[110:111]
	v_add_f64 v[8:9], v[114:115], v[8:9]
	v_fma_f64 v[114:115], v[116:117], s[10:11], -v[118:119]
	;; [unrolled: 2-line block ×3, first 2 shown]
	v_add_f64 v[106:107], v[110:111], v[106:107]
	v_fma_f64 v[110:111], v[120:121], s[10:11], v[122:123]
	v_add_f64 v[104:105], v[104:105], v[135:136]
	v_fma_f64 v[135:136], v[116:117], s[10:11], v[118:119]
	v_add_f64 v[112:113], v[110:111], v[8:9]
	s_clause 0x1
	buffer_load_dword v8, off, s[60:63], 0 offset:188
	buffer_load_dword v9, off, s[60:63], 0 offset:192
	v_add_f64 v[110:111], v[114:115], v[106:107]
	s_clause 0x1
	buffer_load_dword v106, off, s[60:63], 0 offset:180
	buffer_load_dword v107, off, s[60:63], 0 offset:184
	v_add_f64 v[102:103], v[135:136], v[102:103]
	s_waitcnt vmcnt(2)
	v_add_f64 v[2:3], v[2:3], v[8:9]
	v_fma_f64 v[8:9], v[100:101], s[0:1], -v[184:185]
	s_waitcnt vmcnt(0)
	v_add_f64 v[8:9], v[8:9], v[106:107]
	v_fma_f64 v[106:107], v[92:93], s[18:19], v[186:187]
	v_add_f64 v[2:3], v[106:107], v[2:3]
	v_fma_f64 v[106:107], v[84:85], s[18:19], -v[162:163]
	v_add_f64 v[8:9], v[106:107], v[8:9]
	v_fma_f64 v[106:107], v[86:87], s[8:9], v[178:179]
	v_add_f64 v[8:9], v[40:41], v[8:9]
	v_add_f64 v[2:3], v[106:107], v[2:3]
	v_fma_f64 v[40:41], v[116:117], s[16:17], -v[54:55]
	v_add_f64 v[2:3], v[10:11], v[2:3]
	v_fma_f64 v[10:11], v[80:81], s[20:21], -v[44:45]
	v_add_f64 v[8:9], v[10:11], v[8:9]
	v_fma_f64 v[10:11], v[108:109], s[2:3], v[42:43]
	v_add_f64 v[2:3], v[10:11], v[2:3]
	v_fma_f64 v[10:11], v[96:97], s[2:3], -v[48:49]
	v_add_f64 v[8:9], v[10:11], v[8:9]
	v_fma_f64 v[10:11], v[90:91], s[10:11], v[46:47]
	;; [unrolled: 4-line block ×3, first 2 shown]
	v_add_f64 v[125:126], v[40:41], v[8:9]
	v_add_f64 v[127:128], v[10:11], v[2:3]
	s_clause 0x1
	buffer_load_dword v10, off, s[60:63], 0 offset:172
	buffer_load_dword v11, off, s[60:63], 0 offset:176
	v_fma_f64 v[2:3], v[94:95], s[10:11], v[236:237]
	v_fma_f64 v[8:9], v[100:101], s[10:11], -v[247:248]
	v_add_f64 v[2:3], v[2:3], v[174:175]
	s_waitcnt vmcnt(0)
	v_add_f64 v[8:9], v[8:9], v[10:11]
	v_fma_f64 v[10:11], v[92:93], s[0:1], v[245:246]
	v_mov_b32_e32 v248, v169
	v_mov_b32_e32 v247, v168
	;; [unrolled: 1-line block ×4, first 2 shown]
	v_add_f64 v[2:3], v[10:11], v[2:3]
	v_fma_f64 v[10:11], v[84:85], s[0:1], -v[251:252]
	v_add_f64 v[8:9], v[10:11], v[8:9]
	v_fma_f64 v[10:11], v[86:87], s[18:19], v[249:250]
	v_add_f64 v[2:3], v[10:11], v[2:3]
	v_fma_f64 v[10:11], v[82:83], s[18:19], -v[141:142]
	v_add_f64 v[8:9], v[10:11], v[8:9]
	v_fma_f64 v[10:11], v[98:99], s[16:17], v[253:254]
	v_add_f64 v[0:1], v[0:1], v[8:9]
	v_add_f64 v[2:3], v[10:11], v[2:3]
	v_fma_f64 v[8:9], v[108:109], s[8:9], v[240:241]
	v_mov_b32_e32 v241, v143
	v_add_f64 v[0:1], v[4:5], v[0:1]
	v_fma_f64 v[4:5], v[90:91], s[22:23], v[6:7]
	v_add_f64 v[2:3], v[8:9], v[2:3]
	v_fma_f64 v[6:7], v[116:117], s[2:3], -v[139:140]
	v_add_f64 v[2:3], v[4:5], v[2:3]
	v_fma_f64 v[4:5], v[88:89], s[22:23], -v[36:37]
	v_add_f64 v[0:1], v[4:5], v[0:1]
	v_fma_f64 v[4:5], v[120:121], s[2:3], v[38:39]
	v_add_f64 v[129:130], v[6:7], v[0:1]
	v_add_f64 v[131:132], v[4:5], v[2:3]
	s_clause 0x3
	buffer_load_dword v2, off, s[60:63], 0 offset:164
	buffer_load_dword v3, off, s[60:63], 0 offset:168
	;; [unrolled: 1-line block ×4, first 2 shown]
	v_fma_f64 v[0:1], v[94:95], s[22:23], v[56:57]
	v_fma_f64 v[6:7], v[116:117], s[8:9], -v[243:244]
	s_waitcnt vmcnt(2)
	v_add_f64 v[0:1], v[0:1], v[2:3]
	v_fma_f64 v[2:3], v[100:101], s[22:23], -v[160:161]
	s_waitcnt vmcnt(0)
	v_add_f64 v[2:3], v[2:3], v[4:5]
	v_fma_f64 v[4:5], v[92:93], s[10:11], v[176:177]
	v_add_f64 v[0:1], v[4:5], v[0:1]
	v_fma_f64 v[4:5], v[84:85], s[10:11], -v[218:219]
	v_add_f64 v[2:3], v[4:5], v[2:3]
	v_fma_f64 v[4:5], v[86:87], s[0:1], v[220:221]
	v_add_f64 v[0:1], v[4:5], v[0:1]
	v_fma_f64 v[4:5], v[82:83], s[0:1], -v[222:223]
	v_mov_b32_e32 v222, v15
	v_mov_b32_e32 v221, v14
	v_mov_b32_e32 v220, v13
	v_mov_b32_e32 v219, v12
	v_add_f64 v[2:3], v[4:5], v[2:3]
	v_fma_f64 v[4:5], v[98:99], s[2:3], v[224:225]
	v_add_f64 v[0:1], v[4:5], v[0:1]
	v_fma_f64 v[4:5], v[80:81], s[2:3], -v[226:227]
	v_mov_b32_e32 v226, v183
	v_mov_b32_e32 v225, v182
	v_mov_b32_e32 v224, v181
	v_mov_b32_e32 v223, v180
	;; [unrolled: 8-line block ×3, first 2 shown]
	v_mov_b32_e32 v216, v173
	v_mov_b32_e32 v215, v172
	;; [unrolled: 1-line block ×4, first 2 shown]
	v_add_f64 v[2:3], v[4:5], v[2:3]
	v_fma_f64 v[4:5], v[90:91], s[20:21], v[232:233]
	v_add_f64 v[0:1], v[4:5], v[0:1]
	v_fma_f64 v[4:5], v[88:89], s[20:21], -v[234:235]
	v_mov_b32_e32 v234, v212
	v_mov_b32_e32 v233, v211
	;; [unrolled: 1-line block ×8, first 2 shown]
	v_add_f64 v[2:3], v[4:5], v[2:3]
	v_fma_f64 v[4:5], v[120:121], s[8:9], v[238:239]
	v_add_f64 v[133:134], v[6:7], v[2:3]
	s_clause 0x3
	buffer_load_dword v6, off, s[60:63], 0 offset:148
	buffer_load_dword v7, off, s[60:63], 0 offset:152
	;; [unrolled: 1-line block ×4, first 2 shown]
	v_add_f64 v[135:136], v[4:5], v[0:1]
	v_fma_f64 v[0:1], v[94:95], s[16:17], v[188:189]
	v_fma_f64 v[2:3], v[100:101], s[16:17], -v[144:145]
	v_fma_f64 v[4:5], v[92:93], s[20:21], v[146:147]
	s_waitcnt vmcnt(2)
	v_add_f64 v[0:1], v[0:1], v[6:7]
	v_fma_f64 v[6:7], v[84:85], s[20:21], -v[194:195]
	s_waitcnt vmcnt(0)
	v_add_f64 v[2:3], v[2:3], v[8:9]
	v_fma_f64 v[8:9], v[86:87], s[22:23], v[196:197]
	v_add_f64 v[0:1], v[4:5], v[0:1]
	v_fma_f64 v[4:5], v[82:83], s[22:23], -v[198:199]
	v_add_f64 v[2:3], v[6:7], v[2:3]
	v_fma_f64 v[6:7], v[98:99], s[18:19], v[200:201]
	v_add_f64 v[0:1], v[8:9], v[0:1]
	v_fma_f64 v[8:9], v[80:81], s[18:19], -v[74:75]
	v_add_f64 v[2:3], v[4:5], v[2:3]
	v_fma_f64 v[4:5], v[108:109], s[10:11], v[72:73]
	v_add_f64 v[0:1], v[6:7], v[0:1]
	v_fma_f64 v[6:7], v[96:97], s[10:11], -v[68:69]
	v_add_f64 v[2:3], v[8:9], v[2:3]
	v_fma_f64 v[8:9], v[90:91], s[2:3], v[62:63]
	v_add_f64 v[0:1], v[4:5], v[0:1]
	v_fma_f64 v[4:5], v[88:89], s[2:3], -v[60:61]
	v_add_f64 v[2:3], v[6:7], v[2:3]
	v_fma_f64 v[6:7], v[120:121], s[0:1], v[70:71]
	v_mov_b32_e32 v60, v255
	v_mov_b32_e32 v255, v242
	s_clause 0x1
	buffer_load_dword v242, off, s[60:63], 0 offset:20
	buffer_load_dword v120, off, s[60:63], 0 offset:24
	v_add_f64 v[0:1], v[8:9], v[0:1]
	v_fma_f64 v[8:9], v[116:117], s[0:1], -v[58:59]
	v_add_f64 v[2:3], v[4:5], v[2:3]
	v_mul_lo_u16 v4, v255, 17
	v_and_b32_e32 v4, 0xffff, v4
	v_add_f64 v[82:83], v[6:7], v[0:1]
	buffer_load_dword v0, off, s[60:63], 0 offset:4 ; 4-byte Folded Reload
	v_add_f64 v[80:81], v[8:9], v[2:3]
	s_waitcnt vmcnt(0)
	v_lshl_add_u32 v0, v4, 4, v0
	s_clause 0x3
	buffer_load_dword v1, off, s[60:63], 0 offset:28
	buffer_load_dword v2, off, s[60:63], 0 offset:32
	;; [unrolled: 1-line block ×4, first 2 shown]
	s_waitcnt vmcnt(0)
	ds_write_b128 v0, v[1:4]
	ds_write_b128 v0, v[64:67] offset:16
	ds_write_b128 v0, v[148:151] offset:32
	;; [unrolled: 1-line block ×5, first 2 shown]
	s_clause 0x3
	buffer_load_dword v1, off, s[60:63], 0 offset:124
	buffer_load_dword v2, off, s[60:63], 0 offset:128
	buffer_load_dword v3, off, s[60:63], 0 offset:132
	buffer_load_dword v4, off, s[60:63], 0 offset:136
	s_waitcnt vmcnt(0)
	ds_write_b128 v0, v[1:4] offset:96
	s_clause 0x3
	buffer_load_dword v1, off, s[60:63], 0 offset:92
	buffer_load_dword v2, off, s[60:63], 0 offset:96
	buffer_load_dword v3, off, s[60:63], 0 offset:100
	buffer_load_dword v4, off, s[60:63], 0 offset:104
	s_waitcnt vmcnt(0)
	ds_write_b128 v0, v[1:4] offset:112
	;; [unrolled: 7-line block ×6, first 2 shown]
	ds_write_b128 v0, v[110:113] offset:192
	ds_write_b128 v0, v[125:128] offset:208
	;; [unrolled: 1-line block ×5, first 2 shown]
.LBB0_13:
	s_or_b32 exec_lo, exec_lo, s33
	s_waitcnt lgkmcnt(0)
	s_waitcnt_vscnt null, 0x0
	s_barrier
	buffer_gl0_inv
	ds_read_b128 v[0:3], v137 offset:544
	ds_read_b128 v[4:7], v137 offset:1088
	;; [unrolled: 1-line block ×10, first 2 shown]
	ds_read_b128 v[92:95], v137
	ds_read_b128 v[96:99], v137 offset:272
	ds_read_b128 v[100:103], v137 offset:1904
	ds_read_b128 v[104:107], v137 offset:2448
	s_mov_b32 s8, 0x37e14327
	s_mov_b32 s0, 0x36b3c0b5
	;; [unrolled: 1-line block ×9, first 2 shown]
	s_waitcnt lgkmcnt(13)
	v_mul_f64 v[36:37], v[22:23], v[2:3]
	v_mul_f64 v[38:39], v[22:23], v[0:1]
	s_waitcnt lgkmcnt(12)
	v_mul_f64 v[40:41], v[18:19], v[6:7]
	v_mul_f64 v[42:43], v[18:19], v[4:5]
	s_waitcnt lgkmcnt(11)
	v_mul_f64 v[44:45], v[34:35], v[10:11]
	s_waitcnt lgkmcnt(10)
	v_mul_f64 v[46:47], v[30:31], v[66:67]
	v_mul_f64 v[48:49], v[30:31], v[64:65]
	;; [unrolled: 1-line block ×3, first 2 shown]
	s_waitcnt lgkmcnt(9)
	v_mul_f64 v[52:53], v[207:208], v[70:71]
	v_mul_f64 v[54:55], v[207:208], v[68:69]
	s_waitcnt lgkmcnt(8)
	v_mul_f64 v[108:109], v[26:27], v[74:75]
	v_mul_f64 v[110:111], v[26:27], v[72:73]
	s_waitcnt lgkmcnt(1)
	v_mul_f64 v[14:15], v[207:208], v[100:101]
	s_mov_b32 s18, 0x5476071b
	s_mov_b32 s22, 0xb247c609
	;; [unrolled: 1-line block ×9, first 2 shown]
	v_fma_f64 v[0:1], v[20:21], v[0:1], v[36:37]
	v_fma_f64 v[2:3], v[20:21], v[2:3], -v[38:39]
	v_fma_f64 v[4:5], v[16:17], v[4:5], v[40:41]
	v_fma_f64 v[6:7], v[16:17], v[6:7], -v[42:43]
	v_fma_f64 v[8:9], v[32:33], v[8:9], v[44:45]
	v_fma_f64 v[36:37], v[28:29], v[64:65], v[46:47]
	v_fma_f64 v[38:39], v[28:29], v[66:67], -v[48:49]
	v_fma_f64 v[10:11], v[32:33], v[10:11], -v[50:51]
	v_mul_f64 v[40:41], v[22:23], v[78:79]
	v_mul_f64 v[22:23], v[22:23], v[76:77]
	;; [unrolled: 1-line block ×9, first 2 shown]
	v_fma_f64 v[50:51], v[205:206], v[68:69], v[52:53]
	v_fma_f64 v[52:53], v[205:206], v[70:71], -v[54:55]
	v_fma_f64 v[54:55], v[24:25], v[72:73], v[108:109]
	v_fma_f64 v[64:65], v[24:25], v[74:75], -v[110:111]
	s_waitcnt lgkmcnt(0)
	v_mul_f64 v[66:67], v[26:27], v[106:107]
	v_mul_f64 v[26:27], v[26:27], v[104:105]
	v_fma_f64 v[12:13], v[205:206], v[102:103], -v[14:15]
	s_barrier
	v_add_f64 v[72:73], v[4:5], v[8:9]
	v_add_f64 v[68:69], v[0:1], v[36:37]
	;; [unrolled: 1-line block ×4, first 2 shown]
	v_fma_f64 v[40:41], v[20:21], v[76:77], v[40:41]
	v_fma_f64 v[20:21], v[20:21], v[78:79], -v[22:23]
	v_add_f64 v[4:5], v[4:5], -v[8:9]
	v_add_f64 v[6:7], v[6:7], -v[10:11]
	v_fma_f64 v[22:23], v[28:29], v[88:89], v[44:45]
	v_fma_f64 v[28:29], v[28:29], v[90:91], -v[30:31]
	v_fma_f64 v[30:31], v[16:17], v[80:81], v[42:43]
	v_fma_f64 v[16:17], v[16:17], v[82:83], -v[18:19]
	;; [unrolled: 2-line block ×3, first 2 shown]
	v_fma_f64 v[44:45], v[205:206], v[100:101], v[46:47]
	v_add_f64 v[34:35], v[50:51], v[54:55]
	v_add_f64 v[42:43], v[52:53], v[64:65]
	v_fma_f64 v[14:15], v[24:25], v[104:105], v[66:67]
	v_fma_f64 v[24:25], v[24:25], v[106:107], -v[26:27]
	v_add_f64 v[8:9], v[54:55], -v[50:51]
	v_add_f64 v[26:27], v[0:1], -v[36:37]
	;; [unrolled: 1-line block ×4, first 2 shown]
	v_add_f64 v[46:47], v[72:73], v[68:69]
	buffer_gl0_inv
	v_add_f64 v[48:49], v[74:75], v[70:71]
	v_add_f64 v[54:55], v[74:75], -v[70:71]
	v_add_f64 v[38:39], v[40:41], v[22:23]
	v_add_f64 v[50:51], v[20:21], v[28:29]
	v_add_f64 v[22:23], v[40:41], -v[22:23]
	v_add_f64 v[20:21], v[20:21], -v[28:29]
	v_add_f64 v[28:29], v[30:31], v[18:19]
	v_add_f64 v[40:41], v[16:17], v[32:33]
	v_add_f64 v[18:19], v[30:31], -v[18:19]
	v_add_f64 v[16:17], v[16:17], -v[32:33]
	;; [unrolled: 1-line block ×6, first 2 shown]
	v_add_f64 v[52:53], v[44:45], v[14:15]
	v_add_f64 v[14:15], v[14:15], -v[44:45]
	v_add_f64 v[44:45], v[10:11], -v[6:7]
	v_add_f64 v[34:35], v[34:35], v[46:47]
	v_add_f64 v[46:47], v[12:13], v[24:25]
	;; [unrolled: 1-line block ×3, first 2 shown]
	v_add_f64 v[12:13], v[24:25], -v[12:13]
	v_add_f64 v[24:25], v[8:9], -v[4:5]
	;; [unrolled: 1-line block ×3, first 2 shown]
	v_add_f64 v[64:65], v[8:9], v[4:5]
	v_add_f64 v[66:67], v[10:11], v[6:7]
	v_add_f64 v[4:5], v[4:5], -v[26:27]
	v_add_f64 v[72:73], v[6:7], -v[36:37]
	;; [unrolled: 1-line block ×3, first 2 shown]
	v_add_f64 v[68:69], v[28:29], v[38:39]
	v_add_f64 v[70:71], v[40:41], v[50:51]
	v_add_f64 v[10:11], v[36:37], -v[10:11]
	v_mul_f64 v[6:7], v[0:1], s[8:9]
	v_mul_f64 v[74:75], v[2:3], s[8:9]
	;; [unrolled: 1-line block ×4, first 2 shown]
	v_add_f64 v[80:81], v[38:39], -v[52:53]
	v_add_f64 v[84:85], v[52:53], -v[28:29]
	;; [unrolled: 1-line block ×3, first 2 shown]
	v_add_f64 v[0:1], v[92:93], v[34:35]
	v_add_f64 v[82:83], v[50:51], -v[46:47]
	v_add_f64 v[2:3], v[94:95], v[42:43]
	v_add_f64 v[86:87], v[46:47], -v[40:41]
	v_mul_f64 v[24:25], v[24:25], s[10:11]
	v_add_f64 v[90:91], v[12:13], -v[16:17]
	v_add_f64 v[92:93], v[18:19], -v[22:23]
	v_add_f64 v[94:95], v[16:17], -v[20:21]
	v_mul_f64 v[44:45], v[44:45], s[10:11]
	v_add_f64 v[26:27], v[64:65], v[26:27]
	v_add_f64 v[36:37], v[66:67], v[36:37]
	;; [unrolled: 1-line block ×4, first 2 shown]
	v_mul_f64 v[64:65], v[4:5], s[2:3]
	v_mul_f64 v[66:67], v[72:73], s[2:3]
	v_fma_f64 v[30:31], v[30:31], s[0:1], v[6:7]
	v_fma_f64 v[32:33], v[32:33], s[0:1], v[74:75]
	v_fma_f64 v[68:69], v[48:49], s[18:19], -v[76:77]
	v_fma_f64 v[70:71], v[54:55], s[18:19], -v[78:79]
	;; [unrolled: 1-line block ×4, first 2 shown]
	v_add_f64 v[28:29], v[28:29], -v[38:39]
	v_fma_f64 v[34:35], v[34:35], s[16:17], v[0:1]
	v_add_f64 v[38:39], v[40:41], -v[50:51]
	v_fma_f64 v[42:43], v[42:43], s[16:17], v[2:3]
	v_add_f64 v[18:19], v[14:15], v[18:19]
	v_fma_f64 v[74:75], v[8:9], s[22:23], v[24:25]
	v_fma_f64 v[24:25], v[4:5], s[2:3], -v[24:25]
	v_add_f64 v[16:17], v[12:13], v[16:17]
	v_mul_f64 v[40:41], v[80:81], s[8:9]
	v_mul_f64 v[50:51], v[82:83], s[8:9]
	;; [unrolled: 1-line block ×4, first 2 shown]
	v_add_f64 v[4:5], v[96:97], v[52:53]
	v_add_f64 v[6:7], v[98:99], v[46:47]
	v_add_f64 v[14:15], v[22:23], -v[14:15]
	v_add_f64 v[12:13], v[20:21], -v[12:13]
	v_mul_f64 v[82:83], v[90:91], s[10:11]
	v_mul_f64 v[88:89], v[88:89], s[10:11]
	;; [unrolled: 1-line block ×4, first 2 shown]
	v_fma_f64 v[76:77], v[10:11], s[22:23], v[44:45]
	v_fma_f64 v[8:9], v[8:9], s[24:25], -v[64:65]
	v_fma_f64 v[10:11], v[10:11], s[24:25], -v[66:67]
	;; [unrolled: 1-line block ×3, first 2 shown]
	v_add_f64 v[64:65], v[68:69], v[34:35]
	v_add_f64 v[66:67], v[70:71], v[42:43]
	;; [unrolled: 1-line block ×8, first 2 shown]
	v_fma_f64 v[68:69], v[28:29], s[18:19], -v[78:79]
	v_fma_f64 v[70:71], v[38:39], s[18:19], -v[80:81]
	v_fma_f64 v[20:21], v[52:53], s[16:17], v[4:5]
	v_fma_f64 v[22:23], v[46:47], s[16:17], v[6:7]
	v_fma_f64 v[46:47], v[84:85], s[0:1], v[40:41]
	v_fma_f64 v[52:53], v[86:87], s[0:1], v[50:51]
	v_fma_f64 v[28:29], v[28:29], s[20:21], -v[40:41]
	v_fma_f64 v[38:39], v[38:39], s[20:21], -v[50:51]
	v_fma_f64 v[40:41], v[12:13], s[22:23], v[82:83]
	v_fma_f64 v[50:51], v[14:15], s[22:23], v[88:89]
	v_fma_f64 v[12:13], v[12:13], s[24:25], -v[90:91]
	v_fma_f64 v[14:15], v[14:15], s[24:25], -v[96:97]
	v_fma_f64 v[72:73], v[94:95], s[2:3], -v[82:83]
	v_fma_f64 v[78:79], v[92:93], s[2:3], -v[88:89]
	s_mov_b32 s0, 0x37c3f68c
	s_mov_b32 s1, 0xbfdc38aa
	v_fma_f64 v[48:49], v[36:37], s[0:1], v[76:77]
	v_fma_f64 v[54:55], v[26:27], s[0:1], v[74:75]
	;; [unrolled: 1-line block ×6, first 2 shown]
	v_add_f64 v[80:81], v[70:71], v[22:23]
	v_add_f64 v[44:45], v[46:47], v[20:21]
	v_add_f64 v[46:47], v[52:53], v[22:23]
	v_add_f64 v[82:83], v[28:29], v[20:21]
	v_add_f64 v[38:39], v[38:39], v[22:23]
	v_fma_f64 v[40:41], v[16:17], s[0:1], v[40:41]
	v_fma_f64 v[50:51], v[18:19], s[0:1], v[50:51]
	;; [unrolled: 1-line block ×4, first 2 shown]
	v_add_f64 v[52:53], v[68:69], v[20:21]
	v_fma_f64 v[72:73], v[16:17], s[0:1], v[72:73]
	v_fma_f64 v[78:79], v[18:19], s[0:1], v[78:79]
	s_and_b32 s0, exec_lo, vcc_lo
	v_add_f64 v[8:9], v[48:49], v[30:31]
	v_add_f64 v[10:11], v[32:33], -v[54:55]
	v_add_f64 v[12:13], v[74:75], v[34:35]
	v_add_f64 v[14:15], v[42:43], -v[76:77]
	v_add_f64 v[16:17], v[64:65], -v[36:37]
	v_add_f64 v[18:19], v[24:25], v[66:67]
	v_add_f64 v[20:21], v[36:37], v[64:65]
	v_add_f64 v[22:23], v[66:67], -v[24:25]
	v_add_f64 v[24:25], v[34:35], -v[74:75]
	v_add_f64 v[26:27], v[76:77], v[42:43]
	v_add_f64 v[28:29], v[30:31], -v[48:49]
	v_add_f64 v[30:31], v[54:55], v[32:33]
	v_add_f64 v[32:33], v[40:41], v[44:45]
	v_add_f64 v[34:35], v[46:47], -v[50:51]
	v_add_f64 v[64:65], v[84:85], v[82:83]
	v_add_f64 v[66:67], v[38:39], -v[86:87]
	v_add_f64 v[76:77], v[82:83], -v[84:85]
	;; [unrolled: 1-line block ×3, first 2 shown]
	v_add_f64 v[70:71], v[78:79], v[80:81]
	v_add_f64 v[72:73], v[72:73], v[52:53]
	v_add_f64 v[74:75], v[80:81], -v[78:79]
	v_add_f64 v[78:79], v[86:87], v[38:39]
	v_add_f64 v[80:81], v[44:45], -v[40:41]
	v_add_f64 v[82:83], v[50:51], v[46:47]
	ds_write_b128 v137, v[0:3]
	ds_write_b128 v137, v[8:11] offset:272
	ds_write_b128 v137, v[12:15] offset:544
	ds_write_b128 v137, v[16:19] offset:816
	ds_write_b128 v137, v[20:23] offset:1088
	ds_write_b128 v137, v[24:27] offset:1360
	ds_write_b128 v137, v[28:31] offset:1632
	ds_write_b128 v137, v[4:7] offset:1904
	ds_write_b128 v137, v[32:35] offset:2176
	ds_write_b128 v137, v[64:67] offset:2448
	ds_write_b128 v137, v[68:71] offset:2720
	ds_write_b128 v137, v[72:75] offset:2992
	ds_write_b128 v137, v[76:79] offset:3264
	ds_write_b128 v137, v[80:83] offset:3536
	s_waitcnt lgkmcnt(0)
	s_barrier
	buffer_gl0_inv
	ds_read_b128 v[0:3], v137 offset:1904
	ds_read_b128 v[4:7], v137 offset:2176
	;; [unrolled: 1-line block ×8, first 2 shown]
	ds_read_b128 v[32:35], v137
	ds_read_b128 v[62:65], v137 offset:272
	ds_read_b128 v[66:69], v137 offset:544
	;; [unrolled: 1-line block ×5, first 2 shown]
	s_waitcnt lgkmcnt(13)
	v_mul_f64 v[36:37], v[215:216], v[2:3]
	v_mul_f64 v[38:39], v[215:216], v[0:1]
	s_waitcnt lgkmcnt(12)
	v_mul_f64 v[40:41], v[211:212], v[6:7]
	v_mul_f64 v[42:43], v[211:212], v[4:5]
	;; [unrolled: 3-line block ×7, first 2 shown]
	v_fma_f64 v[0:1], v[213:214], v[0:1], v[36:37]
	v_fma_f64 v[2:3], v[213:214], v[2:3], -v[38:39]
	v_fma_f64 v[4:5], v[209:210], v[4:5], v[40:41]
	v_fma_f64 v[6:7], v[209:210], v[6:7], -v[42:43]
	;; [unrolled: 2-line block ×7, first 2 shown]
	s_waitcnt lgkmcnt(5)
	v_add_f64 v[0:1], v[32:33], -v[0:1]
	v_add_f64 v[2:3], v[34:35], -v[2:3]
	s_waitcnt lgkmcnt(4)
	v_add_f64 v[4:5], v[62:63], -v[4:5]
	v_add_f64 v[6:7], v[64:65], -v[6:7]
	s_waitcnt lgkmcnt(3)
	v_add_f64 v[8:9], v[66:67], -v[8:9]
	v_add_f64 v[10:11], v[68:69], -v[10:11]
	s_waitcnt lgkmcnt(2)
	v_add_f64 v[12:13], v[70:71], -v[12:13]
	v_add_f64 v[14:15], v[72:73], -v[14:15]
	s_waitcnt lgkmcnt(1)
	v_add_f64 v[16:17], v[74:75], -v[16:17]
	v_add_f64 v[18:19], v[76:77], -v[18:19]
	s_waitcnt lgkmcnt(0)
	v_add_f64 v[20:21], v[78:79], -v[20:21]
	v_add_f64 v[22:23], v[80:81], -v[22:23]
	v_add_f64 v[24:25], v[28:29], -v[24:25]
	v_add_f64 v[26:27], v[30:31], -v[26:27]
	v_fma_f64 v[32:33], v[32:33], 2.0, -v[0:1]
	v_fma_f64 v[34:35], v[34:35], 2.0, -v[2:3]
	;; [unrolled: 1-line block ×14, first 2 shown]
	ds_write_b128 v138, v[32:35]
	ds_write_b128 v138, v[0:3] offset:1904
	ds_write_b128 v138, v[36:39] offset:272
	;; [unrolled: 1-line block ×13, first 2 shown]
	s_waitcnt lgkmcnt(0)
	s_barrier
	buffer_gl0_inv
	s_clause 0x1
	buffer_load_dword v17, off, s[60:63], 0 offset:8
	buffer_load_dword v18, off, s[60:63], 0 offset:12
	s_mov_b32 exec_lo, s0
	s_cbranch_execz .LBB0_15
; %bb.14:
	buffer_load_dword v0, off, s[60:63], 0  ; 4-byte Folded Reload
	global_load_dwordx4 v[3:6], v242, s[12:13]
	ds_read_b128 v[7:10], v138
	s_waitcnt vmcnt(3)
	v_mad_u64_u32 v[15:16], null, s6, v17, 0
	s_mov_b32 s0, 0x1135c811
	s_mov_b32 s1, 0x3f7135c8
	s_mul_i32 s2, s5, 0xe0
	s_mul_hi_u32 s6, s4, 0xe0
	s_mul_i32 s3, s4, 0xe0
	s_add_i32 s2, s6, s2
	s_waitcnt vmcnt(1)
	v_lshl_add_u32 v2, v0, 4, v242
	ds_read_b128 v[11:14], v2 offset:224
	s_waitcnt vmcnt(0) lgkmcnt(1)
	v_mul_f64 v[0:1], v[9:10], v[5:6]
	v_mul_f64 v[5:6], v[7:8], v[5:6]
	v_fma_f64 v[0:1], v[7:8], v[3:4], v[0:1]
	v_fma_f64 v[5:6], v[3:4], v[9:10], -v[5:6]
	v_mad_u64_u32 v[7:8], null, s4, v255, 0
	v_mov_b32_e32 v3, v16
	v_mov_b32_e32 v4, v8
	v_mad_u64_u32 v[8:9], null, s7, v17, v[3:4]
	v_mov_b32_e32 v16, v8
	v_mad_u64_u32 v[9:10], null, s5, v255, v[4:5]
	v_mul_f64 v[3:4], v[0:1], s[0:1]
	v_mul_f64 v[5:6], v[5:6], s[0:1]
	v_lshlrev_b64 v[0:1], 4, v[15:16]
	v_mov_b32_e32 v8, v9
	v_add_co_u32 v0, vcc_lo, s14, v0
	v_add_co_ci_u32_e32 v1, vcc_lo, s15, v1, vcc_lo
	v_lshlrev_b64 v[7:8], 4, v[7:8]
	v_add_co_u32 v7, vcc_lo, v0, v7
	v_add_co_ci_u32_e32 v8, vcc_lo, v1, v8, vcc_lo
	v_add_co_u32 v15, vcc_lo, v7, s3
	global_store_dwordx4 v[7:8], v[3:6], off
	global_load_dwordx4 v[3:6], v242, s[12:13] offset:224
	v_add_co_ci_u32_e32 v16, vcc_lo, s2, v8, vcc_lo
	s_waitcnt vmcnt(0) lgkmcnt(0)
	v_mul_f64 v[9:10], v[13:14], v[5:6]
	v_mul_f64 v[5:6], v[11:12], v[5:6]
	v_fma_f64 v[9:10], v[11:12], v[3:4], v[9:10]
	v_fma_f64 v[5:6], v[3:4], v[13:14], -v[5:6]
	v_mul_f64 v[3:4], v[9:10], s[0:1]
	v_mul_f64 v[5:6], v[5:6], s[0:1]
	global_store_dwordx4 v[15:16], v[3:6], off
	global_load_dwordx4 v[3:6], v242, s[12:13] offset:448
	ds_read_b128 v[7:10], v2 offset:448
	ds_read_b128 v[11:14], v2 offset:672
	s_waitcnt vmcnt(0) lgkmcnt(1)
	v_mul_f64 v[17:18], v[9:10], v[5:6]
	v_mul_f64 v[5:6], v[7:8], v[5:6]
	v_fma_f64 v[7:8], v[7:8], v[3:4], v[17:18]
	v_fma_f64 v[5:6], v[3:4], v[9:10], -v[5:6]
	v_mul_f64 v[3:4], v[7:8], s[0:1]
	v_mul_f64 v[5:6], v[5:6], s[0:1]
	v_add_co_u32 v7, vcc_lo, v15, s3
	v_add_co_ci_u32_e32 v8, vcc_lo, s2, v16, vcc_lo
	v_add_co_u32 v15, vcc_lo, v7, s3
	v_add_co_ci_u32_e32 v16, vcc_lo, s2, v8, vcc_lo
	global_store_dwordx4 v[7:8], v[3:6], off
	global_load_dwordx4 v[3:6], v242, s[12:13] offset:672
	s_waitcnt vmcnt(0) lgkmcnt(0)
	v_mul_f64 v[9:10], v[13:14], v[5:6]
	v_mul_f64 v[5:6], v[11:12], v[5:6]
	v_fma_f64 v[9:10], v[11:12], v[3:4], v[9:10]
	v_fma_f64 v[5:6], v[3:4], v[13:14], -v[5:6]
	v_mul_f64 v[3:4], v[9:10], s[0:1]
	v_mul_f64 v[5:6], v[5:6], s[0:1]
	global_store_dwordx4 v[15:16], v[3:6], off
	global_load_dwordx4 v[3:6], v242, s[12:13] offset:896
	ds_read_b128 v[7:10], v2 offset:896
	ds_read_b128 v[11:14], v2 offset:1120
	s_waitcnt vmcnt(0) lgkmcnt(1)
	v_mul_f64 v[17:18], v[9:10], v[5:6]
	v_mul_f64 v[5:6], v[7:8], v[5:6]
	v_fma_f64 v[7:8], v[7:8], v[3:4], v[17:18]
	v_fma_f64 v[5:6], v[3:4], v[9:10], -v[5:6]
	v_mul_f64 v[3:4], v[7:8], s[0:1]
	v_mul_f64 v[5:6], v[5:6], s[0:1]
	v_add_co_u32 v7, vcc_lo, v15, s3
	v_add_co_ci_u32_e32 v8, vcc_lo, s2, v16, vcc_lo
	v_add_co_u32 v15, vcc_lo, v7, s3
	v_add_co_ci_u32_e32 v16, vcc_lo, s2, v8, vcc_lo
	global_store_dwordx4 v[7:8], v[3:6], off
	global_load_dwordx4 v[3:6], v242, s[12:13] offset:1120
	;; [unrolled: 24-line block ×3, first 2 shown]
	s_waitcnt vmcnt(0) lgkmcnt(0)
	v_mul_f64 v[9:10], v[13:14], v[5:6]
	v_mul_f64 v[5:6], v[11:12], v[5:6]
	v_fma_f64 v[9:10], v[11:12], v[3:4], v[9:10]
	v_fma_f64 v[5:6], v[3:4], v[13:14], -v[5:6]
	v_mul_f64 v[3:4], v[9:10], s[0:1]
	v_mul_f64 v[5:6], v[5:6], s[0:1]
	global_store_dwordx4 v[15:16], v[3:6], off
	global_load_dwordx4 v[3:6], v242, s[12:13] offset:1792
	ds_read_b128 v[7:10], v2 offset:1792
	ds_read_b128 v[11:14], v2 offset:2016
	v_mad_u64_u32 v[15:16], null, 0x1c0, s4, v[15:16]
	s_waitcnt vmcnt(0) lgkmcnt(1)
	v_mul_f64 v[17:18], v[9:10], v[5:6]
	v_mul_f64 v[5:6], v[7:8], v[5:6]
	v_fma_f64 v[7:8], v[7:8], v[3:4], v[17:18]
	v_fma_f64 v[5:6], v[3:4], v[9:10], -v[5:6]
	buffer_load_dword v4, off, s[60:63], 0 offset:16 ; 4-byte Folded Reload
	v_mul_f64 v[5:6], v[5:6], s[0:1]
	s_waitcnt vmcnt(0)
	v_mad_u64_u32 v[9:10], null, s4, v4, 0
	v_mov_b32_e32 v3, v10
	v_mad_u64_u32 v[17:18], null, s5, v4, v[3:4]
	v_mul_f64 v[3:4], v[7:8], s[0:1]
	v_mov_b32_e32 v10, v17
	v_lshlrev_b64 v[7:8], 4, v[9:10]
	v_add_co_u32 v7, vcc_lo, v0, v7
	v_add_co_ci_u32_e32 v8, vcc_lo, v1, v8, vcc_lo
	global_store_dwordx4 v[7:8], v[3:6], off
	global_load_dwordx4 v[3:6], v242, s[12:13] offset:2016
	s_waitcnt vmcnt(0) lgkmcnt(0)
	v_mul_f64 v[7:8], v[13:14], v[5:6]
	v_mul_f64 v[5:6], v[11:12], v[5:6]
	v_fma_f64 v[7:8], v[11:12], v[3:4], v[7:8]
	v_fma_f64 v[5:6], v[3:4], v[13:14], -v[5:6]
	v_mul_f64 v[3:4], v[7:8], s[0:1]
	v_mul_f64 v[5:6], v[5:6], s[0:1]
	v_mov_b32_e32 v7, v16
	v_mad_u64_u32 v[7:8], null, 0x1c0, s5, v[7:8]
	v_add_co_u32 v8, s6, s12, v242
	v_add_co_ci_u32_e64 v9, null, s13, 0, s6
	v_add_co_u32 v17, vcc_lo, 0x800, v8
	v_mov_b32_e32 v16, v7
	v_add_co_ci_u32_e32 v18, vcc_lo, 0, v9, vcc_lo
	global_store_dwordx4 v[15:16], v[3:6], off
	global_load_dwordx4 v[3:6], v[17:18], off offset:192
	ds_read_b128 v[7:10], v2 offset:2240
	ds_read_b128 v[11:14], v2 offset:2464
	s_waitcnt vmcnt(0) lgkmcnt(1)
	v_mul_f64 v[19:20], v[9:10], v[5:6]
	v_mul_f64 v[5:6], v[7:8], v[5:6]
	v_fma_f64 v[7:8], v[7:8], v[3:4], v[19:20]
	v_fma_f64 v[5:6], v[3:4], v[9:10], -v[5:6]
	v_mul_f64 v[3:4], v[7:8], s[0:1]
	v_mul_f64 v[5:6], v[5:6], s[0:1]
	v_add_co_u32 v7, vcc_lo, v15, s3
	v_add_co_ci_u32_e32 v8, vcc_lo, s2, v16, vcc_lo
	v_add_co_u32 v15, vcc_lo, v7, s3
	v_add_co_ci_u32_e32 v16, vcc_lo, s2, v8, vcc_lo
	global_store_dwordx4 v[7:8], v[3:6], off
	global_load_dwordx4 v[3:6], v[17:18], off offset:416
	s_waitcnt vmcnt(0) lgkmcnt(0)
	v_mul_f64 v[9:10], v[13:14], v[5:6]
	v_mul_f64 v[5:6], v[11:12], v[5:6]
	v_fma_f64 v[9:10], v[11:12], v[3:4], v[9:10]
	v_fma_f64 v[5:6], v[3:4], v[13:14], -v[5:6]
	v_mul_f64 v[3:4], v[9:10], s[0:1]
	v_mul_f64 v[5:6], v[5:6], s[0:1]
	global_store_dwordx4 v[15:16], v[3:6], off
	global_load_dwordx4 v[3:6], v[17:18], off offset:640
	ds_read_b128 v[7:10], v2 offset:2688
	ds_read_b128 v[11:14], v2 offset:2912
	s_waitcnt vmcnt(0) lgkmcnt(1)
	v_mul_f64 v[19:20], v[9:10], v[5:6]
	v_mul_f64 v[5:6], v[7:8], v[5:6]
	v_fma_f64 v[7:8], v[7:8], v[3:4], v[19:20]
	v_fma_f64 v[5:6], v[3:4], v[9:10], -v[5:6]
	v_mul_f64 v[3:4], v[7:8], s[0:1]
	v_mul_f64 v[5:6], v[5:6], s[0:1]
	v_add_co_u32 v7, vcc_lo, v15, s3
	v_add_co_ci_u32_e32 v8, vcc_lo, s2, v16, vcc_lo
	v_add_co_u32 v15, vcc_lo, v7, s3
	v_add_co_ci_u32_e32 v16, vcc_lo, s2, v8, vcc_lo
	global_store_dwordx4 v[7:8], v[3:6], off
	global_load_dwordx4 v[3:6], v[17:18], off offset:864
	s_waitcnt vmcnt(0) lgkmcnt(0)
	v_mul_f64 v[9:10], v[13:14], v[5:6]
	v_mul_f64 v[5:6], v[11:12], v[5:6]
	v_fma_f64 v[9:10], v[11:12], v[3:4], v[9:10]
	v_fma_f64 v[5:6], v[3:4], v[13:14], -v[5:6]
	v_mul_f64 v[3:4], v[9:10], s[0:1]
	v_mul_f64 v[5:6], v[5:6], s[0:1]
	global_store_dwordx4 v[15:16], v[3:6], off
	global_load_dwordx4 v[3:6], v[17:18], off offset:1088
	ds_read_b128 v[7:10], v2 offset:3136
	ds_read_b128 v[11:14], v2 offset:3360
	s_waitcnt vmcnt(0) lgkmcnt(1)
	v_mul_f64 v[19:20], v[9:10], v[5:6]
	v_mul_f64 v[5:6], v[7:8], v[5:6]
	v_fma_f64 v[7:8], v[7:8], v[3:4], v[19:20]
	v_fma_f64 v[5:6], v[3:4], v[9:10], -v[5:6]
	v_mul_f64 v[3:4], v[7:8], s[0:1]
	v_mul_f64 v[5:6], v[5:6], s[0:1]
	v_add_co_u32 v7, vcc_lo, v15, s3
	v_add_co_ci_u32_e32 v8, vcc_lo, s2, v16, vcc_lo
	global_store_dwordx4 v[7:8], v[3:6], off
	global_load_dwordx4 v[3:6], v[17:18], off offset:1312
	v_add_co_u32 v7, vcc_lo, v7, s3
	v_add_co_ci_u32_e32 v8, vcc_lo, s2, v8, vcc_lo
	s_waitcnt vmcnt(0) lgkmcnt(0)
	v_mul_f64 v[9:10], v[13:14], v[5:6]
	v_mul_f64 v[5:6], v[11:12], v[5:6]
	v_fma_f64 v[9:10], v[11:12], v[3:4], v[9:10]
	v_fma_f64 v[5:6], v[3:4], v[13:14], -v[5:6]
	v_mul_f64 v[3:4], v[9:10], s[0:1]
	v_mul_f64 v[5:6], v[5:6], s[0:1]
	v_lshlrev_b32_e32 v9, 4, v241
	global_store_dwordx4 v[7:8], v[3:6], off
	global_load_dwordx4 v[3:6], v9, s[12:13]
	ds_read_b128 v[7:10], v2 offset:3584
	s_waitcnt vmcnt(0) lgkmcnt(0)
	v_mul_f64 v[11:12], v[9:10], v[5:6]
	v_mul_f64 v[5:6], v[7:8], v[5:6]
	v_fma_f64 v[7:8], v[7:8], v[3:4], v[11:12]
	v_fma_f64 v[4:5], v[3:4], v[9:10], -v[5:6]
	v_mad_u64_u32 v[9:10], null, s4, v241, 0
	v_mov_b32_e32 v2, v10
	v_mad_u64_u32 v[10:11], null, s5, v241, v[2:3]
	v_mul_f64 v[2:3], v[7:8], s[0:1]
	v_mul_f64 v[4:5], v[4:5], s[0:1]
	v_lshlrev_b64 v[6:7], 4, v[9:10]
	v_add_co_u32 v0, vcc_lo, v0, v6
	v_add_co_ci_u32_e32 v1, vcc_lo, v1, v7, vcc_lo
	global_store_dwordx4 v[0:1], v[2:5], off
.LBB0_15:
	s_endpgm
	.section	.rodata,"a",@progbits
	.p2align	6, 0x0
	.amdhsa_kernel bluestein_single_back_len238_dim1_dp_op_CI_CI
		.amdhsa_group_segment_fixed_size 11424
		.amdhsa_private_segment_fixed_size 200
		.amdhsa_kernarg_size 104
		.amdhsa_user_sgpr_count 6
		.amdhsa_user_sgpr_private_segment_buffer 1
		.amdhsa_user_sgpr_dispatch_ptr 0
		.amdhsa_user_sgpr_queue_ptr 0
		.amdhsa_user_sgpr_kernarg_segment_ptr 1
		.amdhsa_user_sgpr_dispatch_id 0
		.amdhsa_user_sgpr_flat_scratch_init 0
		.amdhsa_user_sgpr_private_segment_size 0
		.amdhsa_wavefront_size32 1
		.amdhsa_uses_dynamic_stack 0
		.amdhsa_system_sgpr_private_segment_wavefront_offset 1
		.amdhsa_system_sgpr_workgroup_id_x 1
		.amdhsa_system_sgpr_workgroup_id_y 0
		.amdhsa_system_sgpr_workgroup_id_z 0
		.amdhsa_system_sgpr_workgroup_info 0
		.amdhsa_system_vgpr_workitem_id 0
		.amdhsa_next_free_vgpr 256
		.amdhsa_next_free_sgpr 64
		.amdhsa_reserve_vcc 1
		.amdhsa_reserve_flat_scratch 0
		.amdhsa_float_round_mode_32 0
		.amdhsa_float_round_mode_16_64 0
		.amdhsa_float_denorm_mode_32 3
		.amdhsa_float_denorm_mode_16_64 3
		.amdhsa_dx10_clamp 1
		.amdhsa_ieee_mode 1
		.amdhsa_fp16_overflow 0
		.amdhsa_workgroup_processor_mode 1
		.amdhsa_memory_ordered 1
		.amdhsa_forward_progress 0
		.amdhsa_shared_vgpr_count 0
		.amdhsa_exception_fp_ieee_invalid_op 0
		.amdhsa_exception_fp_denorm_src 0
		.amdhsa_exception_fp_ieee_div_zero 0
		.amdhsa_exception_fp_ieee_overflow 0
		.amdhsa_exception_fp_ieee_underflow 0
		.amdhsa_exception_fp_ieee_inexact 0
		.amdhsa_exception_int_div_zero 0
	.end_amdhsa_kernel
	.text
.Lfunc_end0:
	.size	bluestein_single_back_len238_dim1_dp_op_CI_CI, .Lfunc_end0-bluestein_single_back_len238_dim1_dp_op_CI_CI
                                        ; -- End function
	.section	.AMDGPU.csdata,"",@progbits
; Kernel info:
; codeLenInByte = 24956
; NumSgprs: 66
; NumVgprs: 256
; ScratchSize: 200
; MemoryBound: 0
; FloatMode: 240
; IeeeMode: 1
; LDSByteSize: 11424 bytes/workgroup (compile time only)
; SGPRBlocks: 8
; VGPRBlocks: 31
; NumSGPRsForWavesPerEU: 66
; NumVGPRsForWavesPerEU: 256
; Occupancy: 4
; WaveLimiterHint : 1
; COMPUTE_PGM_RSRC2:SCRATCH_EN: 1
; COMPUTE_PGM_RSRC2:USER_SGPR: 6
; COMPUTE_PGM_RSRC2:TRAP_HANDLER: 0
; COMPUTE_PGM_RSRC2:TGID_X_EN: 1
; COMPUTE_PGM_RSRC2:TGID_Y_EN: 0
; COMPUTE_PGM_RSRC2:TGID_Z_EN: 0
; COMPUTE_PGM_RSRC2:TIDIG_COMP_CNT: 0
	.text
	.p2alignl 6, 3214868480
	.fill 48, 4, 3214868480
	.type	__hip_cuid_e2f43debcbcea8de,@object ; @__hip_cuid_e2f43debcbcea8de
	.section	.bss,"aw",@nobits
	.globl	__hip_cuid_e2f43debcbcea8de
__hip_cuid_e2f43debcbcea8de:
	.byte	0                               ; 0x0
	.size	__hip_cuid_e2f43debcbcea8de, 1

	.ident	"AMD clang version 19.0.0git (https://github.com/RadeonOpenCompute/llvm-project roc-6.4.0 25133 c7fe45cf4b819c5991fe208aaa96edf142730f1d)"
	.section	".note.GNU-stack","",@progbits
	.addrsig
	.addrsig_sym __hip_cuid_e2f43debcbcea8de
	.amdgpu_metadata
---
amdhsa.kernels:
  - .args:
      - .actual_access:  read_only
        .address_space:  global
        .offset:         0
        .size:           8
        .value_kind:     global_buffer
      - .actual_access:  read_only
        .address_space:  global
        .offset:         8
        .size:           8
        .value_kind:     global_buffer
      - .actual_access:  read_only
        .address_space:  global
        .offset:         16
        .size:           8
        .value_kind:     global_buffer
      - .actual_access:  read_only
        .address_space:  global
        .offset:         24
        .size:           8
        .value_kind:     global_buffer
      - .actual_access:  read_only
        .address_space:  global
        .offset:         32
        .size:           8
        .value_kind:     global_buffer
      - .offset:         40
        .size:           8
        .value_kind:     by_value
      - .address_space:  global
        .offset:         48
        .size:           8
        .value_kind:     global_buffer
      - .address_space:  global
        .offset:         56
        .size:           8
        .value_kind:     global_buffer
      - .address_space:  global
        .offset:         64
        .size:           8
        .value_kind:     global_buffer
      - .address_space:  global
        .offset:         72
        .size:           8
        .value_kind:     global_buffer
      - .offset:         80
        .size:           4
        .value_kind:     by_value
      - .address_space:  global
        .offset:         88
        .size:           8
        .value_kind:     global_buffer
      - .address_space:  global
        .offset:         96
        .size:           8
        .value_kind:     global_buffer
    .group_segment_fixed_size: 11424
    .kernarg_segment_align: 8
    .kernarg_segment_size: 104
    .language:       OpenCL C
    .language_version:
      - 2
      - 0
    .max_flat_workgroup_size: 51
    .name:           bluestein_single_back_len238_dim1_dp_op_CI_CI
    .private_segment_fixed_size: 200
    .sgpr_count:     66
    .sgpr_spill_count: 0
    .symbol:         bluestein_single_back_len238_dim1_dp_op_CI_CI.kd
    .uniform_work_group_size: 1
    .uses_dynamic_stack: false
    .vgpr_count:     256
    .vgpr_spill_count: 49
    .wavefront_size: 32
    .workgroup_processor_mode: 1
amdhsa.target:   amdgcn-amd-amdhsa--gfx1030
amdhsa.version:
  - 1
  - 2
...

	.end_amdgpu_metadata
